;; amdgpu-corpus repo=ROCm/rocFFT kind=compiled arch=gfx1201 opt=O3
	.text
	.amdgcn_target "amdgcn-amd-amdhsa--gfx1201"
	.amdhsa_code_object_version 6
	.protected	fft_rtc_back_len1456_factors_13_4_7_2_2_wgs_182_tpt_182_halfLds_dp_op_CI_CI_sbrr_dirReg ; -- Begin function fft_rtc_back_len1456_factors_13_4_7_2_2_wgs_182_tpt_182_halfLds_dp_op_CI_CI_sbrr_dirReg
	.globl	fft_rtc_back_len1456_factors_13_4_7_2_2_wgs_182_tpt_182_halfLds_dp_op_CI_CI_sbrr_dirReg
	.p2align	8
	.type	fft_rtc_back_len1456_factors_13_4_7_2_2_wgs_182_tpt_182_halfLds_dp_op_CI_CI_sbrr_dirReg,@function
fft_rtc_back_len1456_factors_13_4_7_2_2_wgs_182_tpt_182_halfLds_dp_op_CI_CI_sbrr_dirReg: ; @fft_rtc_back_len1456_factors_13_4_7_2_2_wgs_182_tpt_182_halfLds_dp_op_CI_CI_sbrr_dirReg
; %bb.0:
	s_clause 0x2
	s_load_b128 s[12:15], s[0:1], 0x18
	s_load_b128 s[8:11], s[0:1], 0x0
	;; [unrolled: 1-line block ×3, first 2 shown]
	v_mul_u32_u24_e32 v1, 0x169, v0
	v_mov_b32_e32 v3, 0
	s_wait_kmcnt 0x0
	s_load_b64 s[18:19], s[12:13], 0x0
	s_load_b64 s[16:17], s[14:15], 0x0
	v_lshrrev_b32_e32 v1, 16, v1
	v_cmp_lt_u64_e64 s2, s[10:11], 2
	s_delay_alu instid0(VALU_DEP_2)
	v_add_nc_u32_e32 v5, ttmp9, v1
	v_mov_b32_e32 v1, 0
	v_mov_b32_e32 v2, 0
	;; [unrolled: 1-line block ×3, first 2 shown]
	s_and_b32 vcc_lo, exec_lo, s2
	s_cbranch_vccnz .LBB0_8
; %bb.1:
	s_load_b64 s[2:3], s[0:1], 0x10
	v_mov_b32_e32 v1, 0
	v_mov_b32_e32 v2, 0
	s_add_nc_u64 s[20:21], s[14:15], 8
	s_add_nc_u64 s[22:23], s[12:13], 8
	s_mov_b64 s[24:25], 1
	s_delay_alu instid0(VALU_DEP_1)
	v_dual_mov_b32 v73, v2 :: v_dual_mov_b32 v72, v1
	s_wait_kmcnt 0x0
	s_add_nc_u64 s[26:27], s[2:3], 8
	s_mov_b32 s3, 0
.LBB0_2:                                ; =>This Inner Loop Header: Depth=1
	s_load_b64 s[28:29], s[26:27], 0x0
                                        ; implicit-def: $vgpr76_vgpr77
	s_mov_b32 s2, exec_lo
	s_wait_kmcnt 0x0
	v_or_b32_e32 v4, s29, v6
	s_delay_alu instid0(VALU_DEP_1)
	v_cmpx_ne_u64_e32 0, v[3:4]
	s_wait_alu 0xfffe
	s_xor_b32 s30, exec_lo, s2
	s_cbranch_execz .LBB0_4
; %bb.3:                                ;   in Loop: Header=BB0_2 Depth=1
	s_cvt_f32_u32 s2, s28
	s_cvt_f32_u32 s31, s29
	s_sub_nc_u64 s[36:37], 0, s[28:29]
	s_wait_alu 0xfffe
	s_delay_alu instid0(SALU_CYCLE_1) | instskip(SKIP_1) | instid1(SALU_CYCLE_2)
	s_fmamk_f32 s2, s31, 0x4f800000, s2
	s_wait_alu 0xfffe
	v_s_rcp_f32 s2, s2
	s_delay_alu instid0(TRANS32_DEP_1) | instskip(SKIP_1) | instid1(SALU_CYCLE_2)
	s_mul_f32 s2, s2, 0x5f7ffffc
	s_wait_alu 0xfffe
	s_mul_f32 s31, s2, 0x2f800000
	s_wait_alu 0xfffe
	s_delay_alu instid0(SALU_CYCLE_2) | instskip(SKIP_1) | instid1(SALU_CYCLE_2)
	s_trunc_f32 s31, s31
	s_wait_alu 0xfffe
	s_fmamk_f32 s2, s31, 0xcf800000, s2
	s_cvt_u32_f32 s35, s31
	s_wait_alu 0xfffe
	s_delay_alu instid0(SALU_CYCLE_1) | instskip(SKIP_1) | instid1(SALU_CYCLE_2)
	s_cvt_u32_f32 s34, s2
	s_wait_alu 0xfffe
	s_mul_u64 s[38:39], s[36:37], s[34:35]
	s_wait_alu 0xfffe
	s_mul_hi_u32 s41, s34, s39
	s_mul_i32 s40, s34, s39
	s_mul_hi_u32 s2, s34, s38
	s_mul_i32 s33, s35, s38
	s_wait_alu 0xfffe
	s_add_nc_u64 s[40:41], s[2:3], s[40:41]
	s_mul_hi_u32 s31, s35, s38
	s_mul_hi_u32 s42, s35, s39
	s_add_co_u32 s2, s40, s33
	s_wait_alu 0xfffe
	s_add_co_ci_u32 s2, s41, s31
	s_mul_i32 s38, s35, s39
	s_add_co_ci_u32 s39, s42, 0
	s_wait_alu 0xfffe
	s_add_nc_u64 s[38:39], s[2:3], s[38:39]
	s_wait_alu 0xfffe
	v_add_co_u32 v4, s2, s34, s38
	s_delay_alu instid0(VALU_DEP_1) | instskip(SKIP_1) | instid1(VALU_DEP_1)
	s_cmp_lg_u32 s2, 0
	s_add_co_ci_u32 s35, s35, s39
	v_readfirstlane_b32 s34, v4
	s_wait_alu 0xfffe
	s_delay_alu instid0(VALU_DEP_1)
	s_mul_u64 s[36:37], s[36:37], s[34:35]
	s_wait_alu 0xfffe
	s_mul_hi_u32 s39, s34, s37
	s_mul_i32 s38, s34, s37
	s_mul_hi_u32 s2, s34, s36
	s_mul_i32 s33, s35, s36
	s_wait_alu 0xfffe
	s_add_nc_u64 s[38:39], s[2:3], s[38:39]
	s_mul_hi_u32 s31, s35, s36
	s_mul_hi_u32 s34, s35, s37
	s_wait_alu 0xfffe
	s_add_co_u32 s2, s38, s33
	s_add_co_ci_u32 s2, s39, s31
	s_mul_i32 s36, s35, s37
	s_add_co_ci_u32 s37, s34, 0
	s_wait_alu 0xfffe
	s_add_nc_u64 s[36:37], s[2:3], s[36:37]
	s_wait_alu 0xfffe
	v_add_co_u32 v4, s2, v4, s36
	s_delay_alu instid0(VALU_DEP_1) | instskip(SKIP_1) | instid1(VALU_DEP_1)
	s_cmp_lg_u32 s2, 0
	s_add_co_ci_u32 s2, s35, s37
	v_mul_hi_u32 v13, v5, v4
	s_wait_alu 0xfffe
	v_mad_co_u64_u32 v[7:8], null, v5, s2, 0
	v_mad_co_u64_u32 v[9:10], null, v6, v4, 0
	;; [unrolled: 1-line block ×3, first 2 shown]
	s_delay_alu instid0(VALU_DEP_3) | instskip(SKIP_1) | instid1(VALU_DEP_4)
	v_add_co_u32 v4, vcc_lo, v13, v7
	s_wait_alu 0xfffd
	v_add_co_ci_u32_e32 v7, vcc_lo, 0, v8, vcc_lo
	s_delay_alu instid0(VALU_DEP_2) | instskip(SKIP_1) | instid1(VALU_DEP_2)
	v_add_co_u32 v4, vcc_lo, v4, v9
	s_wait_alu 0xfffd
	v_add_co_ci_u32_e32 v4, vcc_lo, v7, v10, vcc_lo
	s_wait_alu 0xfffd
	v_add_co_ci_u32_e32 v7, vcc_lo, 0, v12, vcc_lo
	s_delay_alu instid0(VALU_DEP_2) | instskip(SKIP_1) | instid1(VALU_DEP_2)
	v_add_co_u32 v4, vcc_lo, v4, v11
	s_wait_alu 0xfffd
	v_add_co_ci_u32_e32 v9, vcc_lo, 0, v7, vcc_lo
	s_delay_alu instid0(VALU_DEP_2) | instskip(SKIP_1) | instid1(VALU_DEP_3)
	v_mul_lo_u32 v10, s29, v4
	v_mad_co_u64_u32 v[7:8], null, s28, v4, 0
	v_mul_lo_u32 v11, s28, v9
	s_delay_alu instid0(VALU_DEP_2) | instskip(NEXT) | instid1(VALU_DEP_2)
	v_sub_co_u32 v7, vcc_lo, v5, v7
	v_add3_u32 v8, v8, v11, v10
	s_delay_alu instid0(VALU_DEP_1) | instskip(SKIP_1) | instid1(VALU_DEP_1)
	v_sub_nc_u32_e32 v10, v6, v8
	s_wait_alu 0xfffd
	v_subrev_co_ci_u32_e64 v10, s2, s29, v10, vcc_lo
	v_add_co_u32 v11, s2, v4, 2
	s_wait_alu 0xf1ff
	v_add_co_ci_u32_e64 v12, s2, 0, v9, s2
	v_sub_co_u32 v13, s2, v7, s28
	v_sub_co_ci_u32_e32 v8, vcc_lo, v6, v8, vcc_lo
	s_wait_alu 0xf1ff
	v_subrev_co_ci_u32_e64 v10, s2, 0, v10, s2
	s_delay_alu instid0(VALU_DEP_3) | instskip(NEXT) | instid1(VALU_DEP_3)
	v_cmp_le_u32_e32 vcc_lo, s28, v13
	v_cmp_eq_u32_e64 s2, s29, v8
	s_wait_alu 0xfffd
	v_cndmask_b32_e64 v13, 0, -1, vcc_lo
	v_cmp_le_u32_e32 vcc_lo, s29, v10
	s_wait_alu 0xfffd
	v_cndmask_b32_e64 v14, 0, -1, vcc_lo
	v_cmp_le_u32_e32 vcc_lo, s28, v7
	;; [unrolled: 3-line block ×3, first 2 shown]
	s_wait_alu 0xfffd
	v_cndmask_b32_e64 v15, 0, -1, vcc_lo
	v_cmp_eq_u32_e32 vcc_lo, s29, v10
	s_wait_alu 0xf1ff
	s_delay_alu instid0(VALU_DEP_2)
	v_cndmask_b32_e64 v7, v15, v7, s2
	s_wait_alu 0xfffd
	v_cndmask_b32_e32 v10, v14, v13, vcc_lo
	v_add_co_u32 v13, vcc_lo, v4, 1
	s_wait_alu 0xfffd
	v_add_co_ci_u32_e32 v14, vcc_lo, 0, v9, vcc_lo
	s_delay_alu instid0(VALU_DEP_3) | instskip(SKIP_1) | instid1(VALU_DEP_2)
	v_cmp_ne_u32_e32 vcc_lo, 0, v10
	s_wait_alu 0xfffd
	v_cndmask_b32_e32 v8, v14, v12, vcc_lo
	v_cndmask_b32_e32 v10, v13, v11, vcc_lo
	v_cmp_ne_u32_e32 vcc_lo, 0, v7
	s_wait_alu 0xfffd
	s_delay_alu instid0(VALU_DEP_2)
	v_dual_cndmask_b32 v77, v9, v8 :: v_dual_cndmask_b32 v76, v4, v10
.LBB0_4:                                ;   in Loop: Header=BB0_2 Depth=1
	s_wait_alu 0xfffe
	s_and_not1_saveexec_b32 s2, s30
	s_cbranch_execz .LBB0_6
; %bb.5:                                ;   in Loop: Header=BB0_2 Depth=1
	v_cvt_f32_u32_e32 v4, s28
	s_sub_co_i32 s30, 0, s28
	v_mov_b32_e32 v77, v3
	s_delay_alu instid0(VALU_DEP_2) | instskip(NEXT) | instid1(TRANS32_DEP_1)
	v_rcp_iflag_f32_e32 v4, v4
	v_mul_f32_e32 v4, 0x4f7ffffe, v4
	s_delay_alu instid0(VALU_DEP_1) | instskip(SKIP_1) | instid1(VALU_DEP_1)
	v_cvt_u32_f32_e32 v4, v4
	s_wait_alu 0xfffe
	v_mul_lo_u32 v7, s30, v4
	s_delay_alu instid0(VALU_DEP_1) | instskip(NEXT) | instid1(VALU_DEP_1)
	v_mul_hi_u32 v7, v4, v7
	v_add_nc_u32_e32 v4, v4, v7
	s_delay_alu instid0(VALU_DEP_1) | instskip(NEXT) | instid1(VALU_DEP_1)
	v_mul_hi_u32 v4, v5, v4
	v_mul_lo_u32 v7, v4, s28
	v_add_nc_u32_e32 v8, 1, v4
	s_delay_alu instid0(VALU_DEP_2) | instskip(NEXT) | instid1(VALU_DEP_1)
	v_sub_nc_u32_e32 v7, v5, v7
	v_subrev_nc_u32_e32 v9, s28, v7
	v_cmp_le_u32_e32 vcc_lo, s28, v7
	s_wait_alu 0xfffd
	s_delay_alu instid0(VALU_DEP_2) | instskip(NEXT) | instid1(VALU_DEP_1)
	v_dual_cndmask_b32 v7, v7, v9 :: v_dual_cndmask_b32 v4, v4, v8
	v_cmp_le_u32_e32 vcc_lo, s28, v7
	s_delay_alu instid0(VALU_DEP_2) | instskip(SKIP_1) | instid1(VALU_DEP_1)
	v_add_nc_u32_e32 v8, 1, v4
	s_wait_alu 0xfffd
	v_cndmask_b32_e32 v76, v4, v8, vcc_lo
.LBB0_6:                                ;   in Loop: Header=BB0_2 Depth=1
	s_wait_alu 0xfffe
	s_or_b32 exec_lo, exec_lo, s2
	v_mul_lo_u32 v4, v77, s28
	s_delay_alu instid0(VALU_DEP_2)
	v_mul_lo_u32 v9, v76, s29
	s_load_b64 s[30:31], s[22:23], 0x0
	v_mad_co_u64_u32 v[7:8], null, v76, s28, 0
	s_load_b64 s[28:29], s[20:21], 0x0
	s_add_nc_u64 s[24:25], s[24:25], 1
	s_add_nc_u64 s[20:21], s[20:21], 8
	s_wait_alu 0xfffe
	v_cmp_ge_u64_e64 s2, s[24:25], s[10:11]
	s_add_nc_u64 s[22:23], s[22:23], 8
	s_add_nc_u64 s[26:27], s[26:27], 8
	v_add3_u32 v4, v8, v9, v4
	v_sub_co_u32 v5, vcc_lo, v5, v7
	s_wait_alu 0xfffd
	s_delay_alu instid0(VALU_DEP_2) | instskip(SKIP_2) | instid1(VALU_DEP_1)
	v_sub_co_ci_u32_e32 v4, vcc_lo, v6, v4, vcc_lo
	s_and_b32 vcc_lo, exec_lo, s2
	s_wait_kmcnt 0x0
	v_mul_lo_u32 v6, s30, v4
	v_mul_lo_u32 v7, s31, v5
	v_mad_co_u64_u32 v[1:2], null, s30, v5, v[1:2]
	v_mul_lo_u32 v4, s28, v4
	v_mul_lo_u32 v8, s29, v5
	v_mad_co_u64_u32 v[72:73], null, s28, v5, v[72:73]
	s_delay_alu instid0(VALU_DEP_4) | instskip(NEXT) | instid1(VALU_DEP_2)
	v_add3_u32 v2, v7, v2, v6
	v_add3_u32 v73, v8, v73, v4
	s_wait_alu 0xfffe
	s_cbranch_vccnz .LBB0_9
; %bb.7:                                ;   in Loop: Header=BB0_2 Depth=1
	v_dual_mov_b32 v5, v76 :: v_dual_mov_b32 v6, v77
	s_branch .LBB0_2
.LBB0_8:
	s_delay_alu instid0(VALU_DEP_2) | instskip(NEXT) | instid1(VALU_DEP_2)
	v_dual_mov_b32 v73, v2 :: v_dual_mov_b32 v72, v1
	v_dual_mov_b32 v77, v6 :: v_dual_mov_b32 v76, v5
.LBB0_9:
	s_load_b64 s[0:1], s[0:1], 0x28
	v_mul_hi_u32 v3, 0x1681682, v0
	s_lshl_b64 s[2:3], s[10:11], 3
                                        ; implicit-def: $vgpr22_vgpr23
                                        ; implicit-def: $vgpr30_vgpr31
                                        ; implicit-def: $vgpr34_vgpr35
                                        ; implicit-def: $vgpr54_vgpr55
                                        ; implicit-def: $vgpr10_vgpr11
                                        ; implicit-def: $vgpr14_vgpr15
                                        ; implicit-def: $vgpr18_vgpr19
                                        ; implicit-def: $vgpr26_vgpr27
                                        ; implicit-def: $vgpr38_vgpr39
                                        ; implicit-def: $vgpr46_vgpr47
                                        ; implicit-def: $vgpr50_vgpr51
                                        ; implicit-def: $vgpr42_vgpr43
                                        ; implicit-def: $vgpr6_vgpr7
	s_delay_alu instid0(VALU_DEP_1) | instskip(NEXT) | instid1(VALU_DEP_1)
	v_mul_u32_u24_e32 v3, 0xb6, v3
	v_sub_nc_u32_e32 v74, v0, v3
	s_wait_kmcnt 0x0
	v_cmp_gt_u64_e32 vcc_lo, s[0:1], v[76:77]
	s_delay_alu instid0(VALU_DEP_2) | instskip(NEXT) | instid1(VALU_DEP_1)
	v_cmp_gt_u32_e64 s0, 0x70, v74
	s_and_b32 s1, vcc_lo, s0
	s_wait_alu 0xfffe
	s_and_saveexec_b32 s10, s1
	s_cbranch_execz .LBB0_11
; %bb.10:
	s_add_nc_u64 s[12:13], s[12:13], s[2:3]
	v_mad_co_u64_u32 v[3:4], null, s18, v74, 0
	s_load_b64 s[12:13], s[12:13], 0x0
	v_add_nc_u32_e32 v18, 0x150, v74
	v_add_nc_u32_e32 v17, 0xe0, v74
	;; [unrolled: 1-line block ×4, first 2 shown]
	v_dual_mov_b32 v0, v4 :: v_dual_add_nc_u32 v37, 0x540, v74
	v_mad_co_u64_u32 v[12:13], null, s18, v18, 0
	v_add_nc_u32_e32 v16, 0x70, v74
	v_mad_co_u64_u32 v[8:9], null, s18, v17, 0
	s_delay_alu instid0(VALU_DEP_4)
	v_mad_co_u64_u32 v[14:15], null, s19, v74, v[0:1]
	v_lshlrev_b64_e32 v[0:1], 4, v[1:2]
	s_wait_kmcnt 0x0
	v_mul_lo_u32 v4, s13, v76
	v_mul_lo_u32 v7, s12, v77
	v_mad_co_u64_u32 v[10:11], null, s12, v76, 0
	s_delay_alu instid0(VALU_DEP_1) | instskip(SKIP_3) | instid1(VALU_DEP_2)
	v_add3_u32 v11, v11, v7, v4
	v_mov_b32_e32 v7, v13
	v_mad_co_u64_u32 v[5:6], null, s18, v16, 0
	v_dual_mov_b32 v4, v14 :: v_dual_add_nc_u32 v19, 0x1c0, v74
	v_mov_b32_e32 v2, v6
	v_mov_b32_e32 v6, v9
	v_lshlrev_b64_e32 v[9:10], 4, v[10:11]
	s_delay_alu instid0(VALU_DEP_3) | instskip(SKIP_1) | instid1(VALU_DEP_3)
	v_mad_co_u64_u32 v[13:14], null, s19, v16, v[2:3]
	v_lshlrev_b64_e32 v[2:3], 4, v[3:4]
	v_add_co_u32 v4, s1, s4, v9
	v_mad_co_u64_u32 v[14:15], null, s19, v17, v[6:7]
	s_wait_alu 0xf1ff
	v_add_co_ci_u32_e64 v9, s1, s5, v10, s1
	v_mov_b32_e32 v6, v13
	v_add_co_u32 v26, s1, v4, v0
	s_wait_alu 0xf1ff
	s_delay_alu instid0(VALU_DEP_3) | instskip(NEXT) | instid1(VALU_DEP_3)
	v_add_co_ci_u32_e64 v27, s1, v9, v1, s1
	v_lshlrev_b64_e32 v[0:1], 4, v[5:6]
	s_delay_alu instid0(VALU_DEP_3) | instskip(SKIP_1) | instid1(VALU_DEP_3)
	v_add_co_u32 v2, s1, v26, v2
	s_wait_alu 0xf1ff
	v_add_co_ci_u32_e64 v3, s1, v27, v3, s1
	v_mov_b32_e32 v9, v14
	s_delay_alu instid0(VALU_DEP_4)
	v_add_co_u32 v0, s1, v26, v0
	s_wait_alu 0xf1ff
	v_add_co_ci_u32_e64 v1, s1, v27, v1, s1
	v_mad_co_u64_u32 v[10:11], null, s19, v18, v[7:8]
	s_clause 0x1
	global_load_b128 v[4:7], v[2:3], off
	global_load_b128 v[20:23], v[0:1], off
	v_mad_co_u64_u32 v[15:16], null, s18, v19, 0
	v_lshlrev_b64_e32 v[0:1], 4, v[8:9]
	s_delay_alu instid0(VALU_DEP_2) | instskip(NEXT) | instid1(VALU_DEP_2)
	v_dual_mov_b32 v13, v10 :: v_dual_mov_b32 v2, v16
	v_add_co_u32 v0, s1, v26, v0
	s_delay_alu instid0(VALU_DEP_2)
	v_lshlrev_b64_e32 v[10:11], 4, v[12:13]
	v_mad_co_u64_u32 v[12:13], null, s18, v24, 0
	v_add_nc_u32_e32 v14, 0x230, v74
	v_mad_co_u64_u32 v[2:3], null, s19, v19, v[2:3]
	v_add_nc_u32_e32 v19, 0x310, v74
	s_wait_alu 0xf1ff
	v_add_co_ci_u32_e64 v1, s1, v27, v1, s1
	v_mad_co_u64_u32 v[8:9], null, s18, v14, 0
	s_delay_alu instid0(VALU_DEP_3) | instskip(NEXT) | instid1(VALU_DEP_2)
	v_mad_co_u64_u32 v[17:18], null, s18, v19, 0
	v_dual_mov_b32 v16, v2 :: v_dual_mov_b32 v3, v9
	v_add_co_u32 v9, s1, v26, v10
	s_wait_alu 0xf1ff
	v_add_co_ci_u32_e64 v10, s1, v27, v11, s1
	s_clause 0x1
	global_load_b128 v[28:31], v[0:1], off
	global_load_b128 v[40:43], v[9:10], off
	s_wait_loadcnt 0x3
	v_mad_co_u64_u32 v[2:3], null, s19, v14, v[3:4]
	v_mov_b32_e32 v3, v13
	s_delay_alu instid0(VALU_DEP_2) | instskip(NEXT) | instid1(VALU_DEP_2)
	v_mov_b32_e32 v9, v2
	v_mad_co_u64_u32 v[10:11], null, s19, v24, v[3:4]
	v_mov_b32_e32 v2, v18
	v_add_nc_u32_e32 v24, 0x460, v74
	s_delay_alu instid0(VALU_DEP_4) | instskip(NEXT) | instid1(VALU_DEP_3)
	v_lshlrev_b64_e32 v[8:9], 4, v[8:9]
	v_mad_co_u64_u32 v[2:3], null, s19, v19, v[2:3]
	v_mov_b32_e32 v13, v10
	v_or_b32_e32 v3, 0x380, v74
	s_delay_alu instid0(VALU_DEP_2) | instskip(NEXT) | instid1(VALU_DEP_2)
	v_lshlrev_b64_e32 v[10:11], 4, v[12:13]
	v_mad_co_u64_u32 v[12:13], null, s18, v3, 0
	v_mov_b32_e32 v18, v2
	s_delay_alu instid0(VALU_DEP_2) | instskip(NEXT) | instid1(VALU_DEP_1)
	v_mov_b32_e32 v2, v13
	v_mad_co_u64_u32 v[2:3], null, s19, v3, v[2:3]
	s_delay_alu instid0(VALU_DEP_1) | instskip(SKIP_2) | instid1(VALU_DEP_2)
	v_mov_b32_e32 v13, v2
	v_lshlrev_b64_e32 v[0:1], 4, v[15:16]
	v_mad_co_u64_u32 v[14:15], null, s18, v24, 0
	v_add_co_u32 v0, s1, v26, v0
	s_wait_alu 0xf1ff
	s_delay_alu instid0(VALU_DEP_3)
	v_add_co_ci_u32_e64 v1, s1, v27, v1, s1
	v_add_co_u32 v8, s1, v26, v8
	s_wait_alu 0xf1ff
	v_add_co_ci_u32_e64 v9, s1, v27, v9, s1
	s_clause 0x1
	global_load_b128 v[48:51], v[0:1], off
	global_load_b128 v[32:35], v[8:9], off
	v_lshlrev_b64_e32 v[8:9], 4, v[17:18]
	v_add_nc_u32_e32 v18, 0x3f0, v74
	v_add_co_u32 v0, s1, v26, v10
	s_wait_alu 0xf1ff
	v_add_co_ci_u32_e64 v1, s1, v27, v11, s1
	s_delay_alu instid0(VALU_DEP_3)
	v_mad_co_u64_u32 v[10:11], null, s18, v18, 0
	v_mad_co_u64_u32 v[16:17], null, s18, v36, 0
	v_mov_b32_e32 v3, v15
	v_add_co_u32 v8, s1, v26, v8
	s_wait_alu 0xf1ff
	v_add_co_ci_u32_e64 v9, s1, v27, v9, s1
	v_mov_b32_e32 v2, v11
	s_clause 0x1
	global_load_b128 v[52:55], v[0:1], off
	global_load_b128 v[44:47], v[8:9], off
	v_mov_b32_e32 v0, v17
	v_lshlrev_b64_e32 v[8:9], 4, v[12:13]
	v_mad_co_u64_u32 v[18:19], null, s19, v18, v[2:3]
	v_mad_co_u64_u32 v[2:3], null, s19, v24, v[3:4]
	;; [unrolled: 1-line block ×4, first 2 shown]
	s_delay_alu instid0(VALU_DEP_4) | instskip(NEXT) | instid1(VALU_DEP_4)
	v_mov_b32_e32 v11, v18
	v_mov_b32_e32 v15, v2
	v_add_co_u32 v2, s1, v26, v8
	v_mov_b32_e32 v1, v25
	s_wait_alu 0xf1ff
	v_add_co_ci_u32_e64 v3, s1, v27, v9, s1
	v_lshlrev_b64_e32 v[8:9], 4, v[10:11]
	v_mov_b32_e32 v17, v0
	v_mad_co_u64_u32 v[10:11], null, s19, v37, v[1:2]
	v_lshlrev_b64_e32 v[11:12], 4, v[14:15]
	s_delay_alu instid0(VALU_DEP_4) | instskip(SKIP_2) | instid1(VALU_DEP_4)
	v_add_co_u32 v0, s1, v26, v8
	s_wait_alu 0xf1ff
	v_add_co_ci_u32_e64 v1, s1, v27, v9, s1
	v_mov_b32_e32 v25, v10
	v_lshlrev_b64_e32 v[8:9], 4, v[16:17]
	v_add_co_u32 v10, s1, v26, v11
	s_wait_alu 0xf1ff
	v_add_co_ci_u32_e64 v11, s1, v27, v12, s1
	v_lshlrev_b64_e32 v[12:13], 4, v[24:25]
	s_delay_alu instid0(VALU_DEP_4) | instskip(SKIP_2) | instid1(VALU_DEP_3)
	v_add_co_u32 v8, s1, v26, v8
	s_wait_alu 0xf1ff
	v_add_co_ci_u32_e64 v9, s1, v27, v9, s1
	v_add_co_u32 v56, s1, v26, v12
	s_wait_alu 0xf1ff
	v_add_co_ci_u32_e64 v57, s1, v27, v13, s1
	s_clause 0x4
	global_load_b128 v[36:39], v[2:3], off
	global_load_b128 v[24:27], v[0:1], off
	;; [unrolled: 1-line block ×5, first 2 shown]
.LBB0_11:
	s_wait_alu 0xfffe
	s_or_b32 exec_lo, exec_lo, s10
	s_wait_loadcnt 0x0
	v_add_f64_e64 v[56:57], v[22:23], -v[10:11]
	s_mov_b32 s36, 0x4267c47c
	s_mov_b32 s24, 0x42a4c3d2
	;; [unrolled: 1-line block ×10, first 2 shown]
	v_add_f64_e32 v[58:59], v[20:21], v[8:9]
	v_add_f64_e64 v[60:61], v[30:31], -v[14:15]
	s_mov_b32 s10, 0xe00740e9
	s_mov_b32 s4, 0x1ea71119
	;; [unrolled: 1-line block ×14, first 2 shown]
	s_wait_alu 0xfffe
	s_mov_b32 s42, s28
	s_mov_b32 s38, s30
	v_add_f64_e32 v[88:89], v[28:29], v[12:13]
	v_add_f64_e64 v[64:65], v[42:43], -v[18:19]
	s_mov_b32 s20, 0x93053d00
	s_mov_b32 s21, 0xbfef11f4
	;; [unrolled: 1-line block ×6, first 2 shown]
	v_add_f64_e32 v[110:111], v[16:17], v[40:41]
	v_mul_f64_e32 v[62:63], s[24:25], v[56:57]
	v_mul_f64_e32 v[66:67], s[30:31], v[56:57]
	;; [unrolled: 1-line block ×5, first 2 shown]
	v_add_f64_e64 v[84:85], v[50:51], -v[26:27]
	s_mov_b32 s45, 0x3fcea1e5
	s_mov_b32 s44, s34
	v_add_f64_e32 v[122:123], v[24:25], v[48:49]
	v_add_f64_e64 v[100:101], v[34:35], -v[38:39]
	v_add_f64_e32 v[138:139], v[32:33], v[36:37]
	s_mov_b32 s49, 0x3fea55e2
	v_mul_f64_e32 v[90:91], s[24:25], v[60:61]
	v_mul_f64_e32 v[92:93], s[26:27], v[60:61]
	;; [unrolled: 1-line block ×4, first 2 shown]
	s_wait_alu 0xfffe
	v_mul_f64_e32 v[98:99], s[38:39], v[60:61]
	s_mov_b32 s48, s24
	v_mul_f64_e32 v[102:103], s[30:31], v[64:65]
	v_mul_f64_e32 v[104:105], s[34:35], v[64:65]
	;; [unrolled: 1-line block ×5, first 2 shown]
	v_fma_f64 v[0:1], v[58:59], s[4:5], -v[62:63]
	v_fma_f64 v[2:3], v[58:59], s[22:23], -v[66:67]
	;; [unrolled: 1-line block ×5, first 2 shown]
	v_mul_f64_e32 v[114:115], s[26:27], v[84:85]
	v_mul_f64_e32 v[118:119], s[42:43], v[84:85]
	;; [unrolled: 1-line block ×6, first 2 shown]
	v_fma_f64 v[116:117], v[88:89], s[4:5], -v[90:91]
	v_fma_f64 v[128:129], v[88:89], s[12:13], -v[92:93]
	;; [unrolled: 1-line block ×10, first 2 shown]
	v_add_f64_e32 v[0:1], v[0:1], v[4:5]
	v_add_f64_e32 v[2:3], v[2:3], v[4:5]
	;; [unrolled: 1-line block ×5, first 2 shown]
	v_fma_f64 v[152:153], v[122:123], s[12:13], -v[114:115]
	v_fma_f64 v[154:155], v[122:123], s[18:19], -v[118:119]
	;; [unrolled: 1-line block ×6, first 2 shown]
	v_add_f64_e32 v[0:1], v[128:129], v[0:1]
	v_add_f64_e32 v[2:3], v[130:131], v[2:3]
	;; [unrolled: 1-line block ×5, first 2 shown]
	v_add_f64_e64 v[116:117], v[54:55], -v[46:47]
	v_mul_f64_e32 v[128:129], s[28:29], v[100:101]
	v_mul_f64_e32 v[130:131], s[38:39], v[100:101]
	;; [unrolled: 1-line block ×4, first 2 shown]
	v_add_f64_e32 v[0:1], v[142:143], v[0:1]
	v_add_f64_e32 v[2:3], v[144:145], v[2:3]
	;; [unrolled: 1-line block ×6, first 2 shown]
	v_mul_f64_e32 v[140:141], s[40:41], v[116:117]
	v_mul_f64_e32 v[142:143], s[28:29], v[116:117]
	;; [unrolled: 1-line block ×5, first 2 shown]
	v_fma_f64 v[162:163], v[138:139], s[18:19], -v[128:129]
	v_fma_f64 v[164:165], v[138:139], s[22:23], -v[130:131]
	v_fma_f64 v[166:167], v[138:139], s[4:5], -v[132:133]
	v_fma_f64 v[168:169], v[138:139], s[20:21], -v[134:135]
	v_add_f64_e32 v[0:1], v[154:155], v[0:1]
	v_add_f64_e32 v[2:3], v[156:157], v[2:3]
	;; [unrolled: 1-line block ×5, first 2 shown]
	v_fma_f64 v[152:153], v[148:149], s[10:11], -v[140:141]
	v_fma_f64 v[154:155], v[148:149], s[18:19], -v[142:143]
	v_fma_f64 v[156:157], v[148:149], s[4:5], -v[144:145]
	v_fma_f64 v[158:159], v[148:149], s[12:13], -v[150:151]
	v_fma_f64 v[160:161], v[148:149], s[20:21], -v[146:147]
	v_add_f64_e32 v[0:1], v[164:165], v[0:1]
	v_add_f64_e32 v[2:3], v[166:167], v[2:3]
	;; [unrolled: 1-line block ×10, first 2 shown]
	s_and_saveexec_b32 s1, s0
	s_cbranch_execz .LBB0_13
; %bb.12:
	v_add_f64_e32 v[152:153], v[20:21], v[4:5]
	v_mul_f64_e32 v[154:155], s[20:21], v[58:59]
	v_mul_f64_e32 v[156:157], s[18:19], v[58:59]
	;; [unrolled: 1-line block ×12, first 2 shown]
	v_add_f64_e32 v[152:153], v[28:29], v[152:153]
	v_fma_f64 v[174:175], v[56:57], s[44:45], v[154:155]
	v_fma_f64 v[56:57], v[56:57], s[34:35], v[154:155]
	v_add_f64_e32 v[86:87], v[86:87], v[156:157]
	v_add_f64_e32 v[68:69], v[68:69], v[158:159]
	v_add_f64_e32 v[66:67], v[66:67], v[160:161]
	v_add_f64_e32 v[70:71], v[70:71], v[162:163]
	v_add_f64_e32 v[58:59], v[62:63], v[58:59]
	v_mul_f64_e32 v[62:63], s[18:19], v[110:111]
	v_mul_f64_e32 v[154:155], s[4:5], v[110:111]
	;; [unrolled: 1-line block ×3, first 2 shown]
	v_fma_f64 v[162:163], v[60:61], s[36:37], v[164:165]
	v_fma_f64 v[60:61], v[60:61], s[40:41], v[164:165]
	v_add_f64_e32 v[98:99], v[98:99], v[166:167]
	v_add_f64_e32 v[96:97], v[96:97], v[168:169]
	;; [unrolled: 1-line block ×3, first 2 shown]
	v_mul_f64_e32 v[158:159], s[12:13], v[110:111]
	v_mul_f64_e32 v[160:161], s[20:21], v[110:111]
	;; [unrolled: 1-line block ×3, first 2 shown]
	v_add_f64_e32 v[94:95], v[94:95], v[170:171]
	v_add_f64_e32 v[92:93], v[92:93], v[172:173]
	v_mul_f64_e32 v[164:165], s[22:23], v[122:123]
	v_mul_f64_e32 v[168:169], s[20:21], v[122:123]
	;; [unrolled: 1-line block ×4, first 2 shown]
	v_add_f64_e32 v[152:153], v[40:41], v[152:153]
	v_add_f64_e32 v[90:91], v[174:175], v[4:5]
	;; [unrolled: 1-line block ×8, first 2 shown]
	v_fma_f64 v[172:173], v[64:65], s[42:43], v[62:63]
	v_fma_f64 v[62:63], v[64:65], s[28:29], v[62:63]
	v_add_f64_e32 v[64:65], v[112:113], v[154:155]
	v_add_f64_e32 v[108:109], v[108:109], v[156:157]
	v_mul_f64_e32 v[58:59], s[12:13], v[122:123]
	v_mul_f64_e32 v[122:123], s[18:19], v[122:123]
	v_add_f64_e32 v[106:107], v[106:107], v[158:159]
	v_add_f64_e32 v[104:105], v[104:105], v[160:161]
	;; [unrolled: 1-line block ×3, first 2 shown]
	v_mul_f64_e32 v[110:111], s[12:13], v[138:139]
	v_add_f64_e32 v[124:125], v[124:125], v[164:165]
	v_add_f64_e32 v[126:127], v[126:127], v[168:169]
	v_fma_f64 v[112:113], v[84:85], s[24:25], v[166:167]
	v_fma_f64 v[84:85], v[84:85], s[48:49], v[166:167]
	v_add_f64_e32 v[120:121], v[120:121], v[170:171]
	v_add_f64_e32 v[152:153], v[48:49], v[152:153]
	;; [unrolled: 1-line block ×9, first 2 shown]
	v_mul_f64_e32 v[96:97], s[20:21], v[138:139]
	v_mul_f64_e32 v[98:99], s[10:11], v[138:139]
	v_mul_f64_e32 v[88:89], s[18:19], v[138:139]
	v_mul_f64_e32 v[92:93], s[22:23], v[138:139]
	v_add_f64_e32 v[58:59], v[114:115], v[58:59]
	v_mul_f64_e32 v[94:95], s[4:5], v[138:139]
	v_add_f64_e32 v[118:119], v[118:119], v[122:123]
	v_fma_f64 v[114:115], v[100:101], s[46:47], v[110:111]
	v_fma_f64 v[100:101], v[100:101], s[26:27], v[110:111]
	v_add_f64_e32 v[152:153], v[32:33], v[152:153]
	v_add_f64_e32 v[90:91], v[172:173], v[90:91]
	v_add_f64_e32 v[56:57], v[62:63], v[56:57]
	v_add_f64_e32 v[60:61], v[64:65], v[60:61]
	v_add_f64_e32 v[62:63], v[108:109], v[68:69]
	v_add_f64_e32 v[64:65], v[106:107], v[66:67]
	v_add_f64_e32 v[66:67], v[102:103], v[70:71]
	v_add_f64_e32 v[4:5], v[104:105], v[4:5]
	v_mul_f64_e32 v[104:105], s[4:5], v[148:149]
	v_mul_f64_e32 v[106:107], s[12:13], v[148:149]
	v_add_f64_e32 v[98:99], v[136:137], v[98:99]
	v_add_f64_e32 v[96:97], v[134:135], v[96:97]
	v_mul_f64_e32 v[108:109], s[22:23], v[148:149]
	v_mul_f64_e32 v[70:71], s[20:21], v[148:149]
	v_add_f64_e32 v[88:89], v[128:129], v[88:89]
	v_mul_f64_e32 v[102:103], s[18:19], v[148:149]
	v_add_f64_e32 v[94:95], v[132:133], v[94:95]
	v_add_f64_e32 v[92:93], v[130:131], v[92:93]
	v_add_f64_e32 v[152:153], v[52:53], v[152:153]
	v_add_f64_e32 v[90:91], v[112:113], v[90:91]
	v_add_f64_e32 v[56:57], v[84:85], v[56:57]
	v_add_f64_e32 v[60:61], v[126:127], v[60:61]
	v_add_f64_e32 v[62:63], v[124:125], v[62:63]
	v_add_f64_e32 v[64:65], v[120:121], v[64:65]
	v_add_f64_e32 v[58:59], v[58:59], v[66:67]
	v_add_f64_e32 v[4:5], v[118:119], v[4:5]
	v_add_f64_e32 v[104:105], v[144:145], v[104:105]
	v_add_f64_e32 v[106:107], v[150:151], v[106:107]
	v_fma_f64 v[84:85], v[116:117], s[38:39], v[108:109]
	v_add_f64_e32 v[70:71], v[146:147], v[70:71]
	v_add_f64_e32 v[102:103], v[142:143], v[102:103]
	;; [unrolled: 1-line block ×16, first 2 shown]
	v_mad_u32_u24 v70, 0x68, v74, 0
	v_add_f64_e32 v[68:69], v[24:25], v[86:87]
	v_mul_f64_e32 v[86:87], s[10:11], v[148:149]
	s_delay_alu instid0(VALU_DEP_2) | instskip(SKIP_1) | instid1(VALU_DEP_3)
	v_add_f64_e32 v[66:67], v[16:17], v[68:69]
	v_fma_f64 v[68:69], v[116:117], s[30:31], v[108:109]
	v_add_f64_e32 v[86:87], v[140:141], v[86:87]
	s_delay_alu instid0(VALU_DEP_3) | instskip(NEXT) | instid1(VALU_DEP_3)
	v_add_f64_e32 v[66:67], v[12:13], v[66:67]
	v_add_f64_e32 v[68:69], v[68:69], v[90:91]
	s_delay_alu instid0(VALU_DEP_3) | instskip(NEXT) | instid1(VALU_DEP_3)
	v_add_f64_e32 v[4:5], v[86:87], v[4:5]
	v_add_f64_e32 v[66:67], v[8:9], v[66:67]
	ds_store_2addr_b64 v70, v[82:83], v[80:81] offset0:8 offset1:9
	ds_store_2addr_b64 v70, v[78:79], v[0:1] offset0:10 offset1:11
	ds_store_2addr_b64 v70, v[62:63], v[60:61] offset0:4 offset1:5
	ds_store_2addr_b64 v70, v[56:57], v[68:69] offset0:6 offset1:7
	ds_store_2addr_b64 v70, v[66:67], v[58:59] offset1:1
	ds_store_2addr_b64 v70, v[4:5], v[64:65] offset0:2 offset1:3
	ds_store_b64 v70, v[2:3] offset:96
.LBB0_13:
	s_wait_alu 0xfffe
	s_or_b32 exec_lo, exec_lo, s1
	v_add_f64_e64 v[150:151], v[20:21], -v[8:9]
	v_add_f64_e64 v[144:145], v[28:29], -v[12:13]
	v_add_f64_e32 v[136:137], v[22:23], v[10:11]
	v_add_f64_e64 v[124:125], v[40:41], -v[16:17]
	v_add_f64_e32 v[122:123], v[30:31], v[14:15]
	v_add_f64_e32 v[96:97], v[18:19], v[42:43]
	v_add_f64_e64 v[120:121], v[48:49], -v[24:25]
	v_add_f64_e64 v[108:109], v[32:33], -v[36:37]
	;; [unrolled: 1-line block ×3, first 2 shown]
	global_wb scope:SCOPE_SE
	s_wait_dscnt 0x0
	s_barrier_signal -1
	s_barrier_wait -1
	global_inv scope:SCOPE_SE
	s_add_nc_u64 s[2:3], s[14:15], s[2:3]
	v_mul_f64_e32 v[140:141], s[36:37], v[150:151]
	v_mul_f64_e32 v[142:143], s[24:25], v[150:151]
	;; [unrolled: 1-line block ×27, first 2 shown]
	v_fma_f64 v[4:5], v[136:137], s[10:11], v[140:141]
	v_fma_f64 v[8:9], v[136:137], s[4:5], v[142:143]
	;; [unrolled: 1-line block ×15, first 2 shown]
	v_add_f64_e32 v[4:5], v[4:5], v[6:7]
	v_add_f64_e32 v[8:9], v[8:9], v[6:7]
	;; [unrolled: 1-line block ×12, first 2 shown]
	v_mul_f64_e32 v[24:25], s[28:29], v[108:109]
	v_mul_f64_e32 v[28:29], s[38:39], v[108:109]
	v_fma_f64 v[44:45], v[20:21], s[12:13], v[98:99]
	v_fma_f64 v[48:49], v[20:21], s[18:19], v[100:101]
	;; [unrolled: 1-line block ×5, first 2 shown]
	v_add_f64_e32 v[60:61], v[60:61], v[70:71]
	v_add_f64_e32 v[8:9], v[62:63], v[8:9]
	;; [unrolled: 1-line block ×6, first 2 shown]
	v_mul_f64_e32 v[16:17], s[34:35], v[86:87]
	v_fma_f64 v[66:67], v[4:5], s[18:19], v[24:25]
	v_fma_f64 v[68:69], v[4:5], s[22:23], v[28:29]
	;; [unrolled: 1-line block ×5, first 2 shown]
	v_add_f64_e32 v[44:45], v[44:45], v[60:61]
	v_add_f64_e32 v[8:9], v[48:49], v[8:9]
	;; [unrolled: 1-line block ×5, first 2 shown]
	v_fma_f64 v[58:59], v[12:13], s[10:11], v[88:89]
	v_fma_f64 v[56:57], v[12:13], s[20:21], v[16:17]
	;; [unrolled: 1-line block ×5, first 2 shown]
	v_add_f64_e32 v[44:45], v[66:67], v[44:45]
	v_add_f64_e32 v[66:67], v[68:69], v[8:9]
	;; [unrolled: 1-line block ×5, first 2 shown]
	v_lshl_add_u32 v152, v74, 3, 0
	s_delay_alu instid0(VALU_DEP_1)
	v_add_nc_u32_e32 v75, 0xa00, v152
	v_add_nc_u32_e32 v153, 0x1600, v152
	;; [unrolled: 1-line block ×3, first 2 shown]
	v_add_f64_e32 v[8:9], v[56:57], v[44:45]
	v_add_f64_e32 v[40:41], v[58:59], v[66:67]
	;; [unrolled: 1-line block ×5, first 2 shown]
	ds_load_2addr_b64 v[60:63], v152 offset1:182
	ds_load_2addr_b64 v[64:67], v75 offset0:44 offset1:226
	ds_load_2addr_b64 v[56:59], v153 offset0:24 offset1:206
	ds_load_2addr_b64 v[68:71], v154 offset0:68 offset1:250
	global_wb scope:SCOPE_SE
	s_wait_dscnt 0x0
	s_barrier_signal -1
	s_barrier_wait -1
	global_inv scope:SCOPE_SE
	s_and_saveexec_b32 s1, s0
	s_cbranch_execz .LBB0_15
; %bb.14:
	v_add_f64_e32 v[22:23], v[22:23], v[6:7]
	s_mov_b32 s14, 0x4bc48dbf
	s_mov_b32 s15, 0xbfcea1e5
	v_mul_f64_e32 v[155:156], s[18:19], v[136:137]
	v_mul_f64_e32 v[157:158], s[22:23], v[136:137]
	;; [unrolled: 1-line block ×3, first 2 shown]
	s_mov_b32 s14, 0x4267c47c
	s_mov_b32 s15, 0x3fddbe06
	v_mul_f64_e32 v[159:160], s[12:13], v[122:123]
	s_wait_alu 0xfffe
	v_mul_f64_e32 v[144:145], s[14:15], v[144:145]
	s_mov_b32 s14, 0x93053d00
	v_mul_f64_e32 v[161:162], s[20:21], v[122:123]
	v_mul_f64_e32 v[163:164], s[18:19], v[122:123]
	;; [unrolled: 1-line block ×3, first 2 shown]
	s_mov_b32 s15, 0xbfef11f4
	s_mov_b32 s24, 0xe00740e9
	;; [unrolled: 1-line block ×3, first 2 shown]
	v_add_f64_e32 v[22:23], v[30:31], v[22:23]
	v_mul_f64_e32 v[30:31], s[10:11], v[136:137]
	v_add_f64_e64 v[138:139], v[157:158], -v[138:139]
	v_mul_f64_e32 v[157:158], s[22:23], v[20:21]
	s_delay_alu instid0(VALU_DEP_4)
	v_add_f64_e32 v[22:23], v[42:43], v[22:23]
	v_mul_f64_e32 v[42:43], s[4:5], v[136:137]
	v_add_f64_e64 v[30:31], v[30:31], -v[140:141]
	v_add_f64_e64 v[140:141], v[155:156], -v[148:149]
	v_mul_f64_e32 v[148:149], s[12:13], v[96:97]
	v_mul_f64_e32 v[155:156], s[4:5], v[96:97]
	v_add_f64_e32 v[138:139], v[138:139], v[6:7]
	v_add_f64_e32 v[22:23], v[50:51], v[22:23]
	v_mul_f64_e32 v[50:51], s[12:13], v[136:137]
	v_add_f64_e64 v[42:43], v[42:43], -v[142:143]
	s_wait_alu 0xfffe
	v_fma_f64 v[142:143], v[136:137], s[14:15], -v[150:151]
	v_fma_f64 v[136:137], v[136:137], s[14:15], v[150:151]
	s_mov_b32 s14, 0x24c2f84
	s_mov_b32 s15, 0xbfe5384d
	v_mul_f64_e32 v[150:151], s[10:11], v[96:97]
	v_add_f64_e32 v[30:31], v[30:31], v[6:7]
	v_add_f64_e32 v[140:141], v[140:141], v[6:7]
	s_wait_alu 0xfffe
	v_mul_f64_e32 v[124:125], s[14:15], v[124:125]
	s_mov_b32 s14, 0x42a4c3d2
	s_mov_b32 s15, 0x3fea55e2
	s_wait_alu 0xfffe
	v_mul_f64_e32 v[120:121], s[14:15], v[120:121]
	s_mov_b32 s14, 0x2ef20147
	s_mov_b32 s15, 0xbfedeba7
	s_wait_alu 0xfffe
	v_mul_f64_e32 v[108:109], s[14:15], v[108:109]
	v_add_f64_e32 v[22:23], v[34:35], v[22:23]
	v_mul_f64_e32 v[34:35], s[4:5], v[122:123]
	v_add_f64_e64 v[50:51], v[50:51], -v[146:147]
	v_mul_f64_e32 v[146:147], s[20:21], v[96:97]
	v_add_f64_e32 v[42:43], v[42:43], v[6:7]
	v_add_f64_e32 v[142:143], v[142:143], v[6:7]
	;; [unrolled: 1-line block ×3, first 2 shown]
	v_mul_f64_e32 v[54:55], s[22:23], v[96:97]
	v_add_f64_e64 v[34:35], v[34:35], -v[126:127]
	v_add_f64_e64 v[126:127], v[159:160], -v[128:129]
	;; [unrolled: 1-line block ×5, first 2 shown]
	v_add_f64_e32 v[50:51], v[50:51], v[6:7]
	v_fma_f64 v[134:135], v[122:123], s[24:25], -v[144:145]
	v_fma_f64 v[122:123], v[122:123], s[24:25], v[144:145]
	v_add_f64_e32 v[6:7], v[136:137], v[6:7]
	s_mov_b32 s24, 0xd0032e0c
	s_mov_b32 s25, 0xbfe7f3cc
	v_mul_f64_e32 v[136:137], s[18:19], v[20:21]
	v_mul_f64_e32 v[144:145], s[10:11], v[20:21]
	;; [unrolled: 1-line block ×3, first 2 shown]
	v_add_f64_e32 v[22:23], v[46:47], v[22:23]
	v_mul_f64_e32 v[46:47], s[12:13], v[20:21]
	v_add_f64_e64 v[54:55], v[54:55], -v[110:111]
	v_add_f64_e64 v[110:111], v[146:147], -v[112:113]
	;; [unrolled: 1-line block ×5, first 2 shown]
	v_add_f64_e32 v[30:31], v[34:35], v[30:31]
	v_add_f64_e32 v[34:35], v[126:127], v[42:43]
	;; [unrolled: 1-line block ×4, first 2 shown]
	s_wait_alu 0xfffe
	v_fma_f64 v[118:119], v[96:97], s[24:25], -v[124:125]
	v_fma_f64 v[96:97], v[96:97], s[24:25], v[124:125]
	v_add_f64_e32 v[124:125], v[128:129], v[138:139]
	v_add_f64_e32 v[126:127], v[134:135], v[142:143]
	;; [unrolled: 1-line block ×3, first 2 shown]
	v_mul_f64_e32 v[122:123], s[22:23], v[4:5]
	s_mov_b32 s22, 0x1ea71119
	v_mul_f64_e32 v[130:131], s[20:21], v[4:5]
	v_mul_f64_e32 v[132:133], s[10:11], v[4:5]
	s_mov_b32 s23, 0x3fe22d96
	v_mul_f64_e32 v[128:129], s[4:5], v[4:5]
	v_add_f64_e32 v[22:23], v[38:39], v[22:23]
	v_mul_f64_e32 v[38:39], s[18:19], v[4:5]
	v_add_f64_e64 v[46:47], v[46:47], -v[98:99]
	v_add_f64_e64 v[98:99], v[136:137], -v[100:101]
	;; [unrolled: 1-line block ×5, first 2 shown]
	v_add_f64_e32 v[30:31], v[54:55], v[30:31]
	v_add_f64_e32 v[34:35], v[110:111], v[34:35]
	;; [unrolled: 1-line block ×4, first 2 shown]
	s_wait_alu 0xfffe
	v_fma_f64 v[106:107], v[20:21], s[22:23], -v[120:121]
	v_fma_f64 v[20:21], v[20:21], s[22:23], v[120:121]
	v_add_f64_e32 v[54:55], v[112:113], v[124:125]
	v_add_f64_e32 v[110:111], v[118:119], v[126:127]
	;; [unrolled: 1-line block ×3, first 2 shown]
	v_mul_f64_e32 v[96:97], s[10:11], v[12:13]
	v_mul_f64_e32 v[114:115], s[4:5], v[12:13]
	s_mov_b32 s4, 0x66966769
	s_mov_b32 s10, 0xb2365da1
	v_mul_f64_e32 v[116:117], s[12:13], v[12:13]
	s_mov_b32 s5, 0x3fefc445
	s_mov_b32 s11, 0xbfd6b1d8
	v_add_f64_e64 v[28:29], v[122:123], -v[28:29]
	v_add_f64_e64 v[36:37], v[130:131], -v[36:37]
	v_mul_f64_e32 v[112:113], s[18:19], v[12:13]
	v_add_f64_e64 v[32:33], v[128:129], -v[32:33]
	s_wait_alu 0xfffe
	v_mul_f64_e32 v[86:87], s[4:5], v[86:87]
	s_mov_b32 s4, 0xebaa3ed8
	s_mov_b32 s5, 0x3fbedb7d
	v_add_f64_e32 v[22:23], v[26:27], v[22:23]
	v_mul_f64_e32 v[26:27], s[20:21], v[12:13]
	v_add_f64_e64 v[24:25], v[38:39], -v[24:25]
	v_add_f64_e64 v[38:39], v[132:133], -v[84:85]
	v_fma_f64 v[84:85], v[4:5], s[10:11], -v[108:109]
	v_fma_f64 v[4:5], v[4:5], s[10:11], v[108:109]
	v_add_f64_e32 v[30:31], v[46:47], v[30:31]
	v_add_f64_e32 v[34:35], v[98:99], v[34:35]
	;; [unrolled: 1-line block ×7, first 2 shown]
	v_add_f64_e64 v[20:21], v[96:97], -v[88:89]
	v_add_f64_e64 v[88:89], v[116:117], -v[94:95]
	v_add_f64_e32 v[18:19], v[18:19], v[22:23]
	v_add_f64_e64 v[16:17], v[26:27], -v[16:17]
	v_add_f64_e64 v[26:27], v[114:115], -v[92:93]
	;; [unrolled: 1-line block ×3, first 2 shown]
	s_wait_alu 0xfffe
	v_fma_f64 v[90:91], v[12:13], s[4:5], -v[86:87]
	v_fma_f64 v[12:13], v[12:13], s[4:5], v[86:87]
	v_add_f64_e32 v[24:25], v[24:25], v[30:31]
	v_add_f64_e32 v[28:29], v[28:29], v[34:35]
	;; [unrolled: 1-line block ×16, first 2 shown]
	v_mad_u32_u24 v10, 0x60, v74, v152
	ds_store_2addr_b64 v10, v[52:53], v[48:49] offset0:8 offset1:9
	ds_store_2addr_b64 v10, v[44:45], v[40:41] offset0:10 offset1:11
	;; [unrolled: 1-line block ×5, first 2 shown]
	ds_store_2addr_b64 v10, v[6:7], v[14:15] offset1:1
	ds_store_b64 v10, v[8:9] offset:96
.LBB0_15:
	s_wait_alu 0xfffe
	s_or_b32 exec_lo, exec_lo, s1
	v_add_nc_u32_e32 v84, 0xb6, v74
	v_and_b32_e32 v4, 0xff, v74
	s_load_b64 s[2:3], s[2:3], 0x0
	global_wb scope:SCOPE_SE
	s_wait_dscnt 0x0
	s_wait_kmcnt 0x0
	s_barrier_signal -1
	v_and_b32_e32 v5, 0xffff, v84
	v_mul_lo_u16 v86, 0x4f, v4
	s_barrier_wait -1
	global_inv scope:SCOPE_SE
	v_cmp_gt_u32_e64 s0, 26, v74
	v_mul_u32_u24_e32 v85, 0x4ec5, v5
	v_lshrrev_b16 v95, 10, v86
	s_delay_alu instid0(VALU_DEP_2) | instskip(NEXT) | instid1(VALU_DEP_2)
	v_lshrrev_b32_e32 v96, 18, v85
	v_mul_lo_u16 v4, v95, 13
	s_delay_alu instid0(VALU_DEP_2) | instskip(NEXT) | instid1(VALU_DEP_2)
	v_mul_lo_u16 v5, v96, 13
	v_sub_nc_u16 v4, v74, v4
	s_delay_alu instid0(VALU_DEP_2) | instskip(NEXT) | instid1(VALU_DEP_2)
	v_sub_nc_u16 v5, v84, v5
	v_and_b32_e32 v97, 0xff, v4
	s_delay_alu instid0(VALU_DEP_2) | instskip(NEXT) | instid1(VALU_DEP_2)
	v_and_b32_e32 v98, 0xffff, v5
	v_mul_u32_u24_e32 v4, 3, v97
	s_delay_alu instid0(VALU_DEP_2) | instskip(NEXT) | instid1(VALU_DEP_2)
	v_mul_u32_u24_e32 v5, 3, v98
	v_lshlrev_b32_e32 v14, 4, v4
	s_delay_alu instid0(VALU_DEP_2)
	v_lshlrev_b32_e32 v26, 4, v5
	s_clause 0x5
	global_load_b128 v[4:7], v14, s[8:9]
	global_load_b128 v[10:13], v14, s[8:9] offset:16
	global_load_b128 v[18:21], v14, s[8:9] offset:32
	global_load_b128 v[22:25], v26, s[8:9]
	global_load_b128 v[14:17], v26, s[8:9] offset:16
	global_load_b128 v[26:29], v26, s[8:9] offset:32
	ds_load_2addr_b64 v[34:37], v75 offset0:44 offset1:226
	ds_load_2addr_b64 v[30:33], v153 offset0:24 offset1:206
	;; [unrolled: 1-line block ×3, first 2 shown]
	s_wait_loadcnt_dscnt 0x502
	v_mul_f64_e32 v[38:39], v[34:35], v[6:7]
	s_wait_loadcnt_dscnt 0x401
	v_mul_f64_e32 v[42:43], v[30:31], v[12:13]
	;; [unrolled: 2-line block ×3, first 2 shown]
	s_wait_loadcnt 0x2
	v_mul_f64_e32 v[50:51], v[36:37], v[24:25]
	s_wait_loadcnt 0x1
	v_mul_f64_e32 v[54:55], v[32:33], v[16:17]
	;; [unrolled: 2-line block ×3, first 2 shown]
	v_mul_f64_e32 v[6:7], v[64:65], v[6:7]
	v_mul_f64_e32 v[20:21], v[68:69], v[20:21]
	;; [unrolled: 1-line block ×4, first 2 shown]
	v_fma_f64 v[38:39], v[64:65], v[4:5], v[38:39]
	v_fma_f64 v[64:65], v[56:57], v[10:11], v[42:43]
	;; [unrolled: 1-line block ×6, first 2 shown]
	v_fma_f64 v[42:43], v[34:35], v[4:5], -v[6:7]
	v_fma_f64 v[4:5], v[87:88], v[18:19], -v[20:21]
	;; [unrolled: 1-line block ×4, first 2 shown]
	v_and_b32_e32 v34, 0xffff, v95
	v_add_f64_e64 v[18:19], v[60:61], -v[64:65]
	v_add_f64_e64 v[54:55], v[38:39], -v[46:47]
	v_lshlrev_b32_e32 v46, 3, v97
	v_add_f64_e64 v[20:21], v[62:63], -v[66:67]
	v_add_f64_e64 v[64:65], v[93:94], -v[68:69]
	v_lshlrev_b32_e32 v47, 3, v98
	v_add_f64_e64 v[68:69], v[42:43], -v[4:5]
	v_add_f64_e64 v[66:67], v[50:51], -v[6:7]
	v_fma_f64 v[6:7], v[60:61], 2.0, -v[18:19]
	v_fma_f64 v[4:5], v[38:39], 2.0, -v[54:55]
	v_mul_u32_u24_e32 v38, 0x1a0, v34
	v_fma_f64 v[22:23], v[62:63], 2.0, -v[20:21]
	v_fma_f64 v[24:25], v[93:94], 2.0, -v[64:65]
	v_mul_u32_u24_e32 v39, 0x1a0, v96
	v_add_f64_e32 v[26:27], v[18:19], v[68:69]
	v_add3_u32 v63, 0, v38, v46
	v_add_nc_u32_e32 v60, 0xc00, v152
	v_add_nc_u32_e32 v61, 0x1a00, v152
	v_add3_u32 v62, 0, v39, v47
	ds_load_2addr_b64 v[34:37], v152 offset1:182
	global_wb scope:SCOPE_SE
	s_wait_dscnt 0x0
	s_barrier_signal -1
	s_barrier_wait -1
	global_inv scope:SCOPE_SE
                                        ; implicit-def: $vgpr38_vgpr39
	v_add_f64_e64 v[28:29], v[6:7], -v[4:5]
	v_add_f64_e32 v[4:5], v[20:21], v[66:67]
	v_add_f64_e64 v[24:25], v[22:23], -v[24:25]
	v_fma_f64 v[18:19], v[18:19], 2.0, -v[26:27]
	s_delay_alu instid0(VALU_DEP_4) | instskip(NEXT) | instid1(VALU_DEP_4)
	v_fma_f64 v[6:7], v[6:7], 2.0, -v[28:29]
	v_fma_f64 v[20:21], v[20:21], 2.0, -v[4:5]
	s_delay_alu instid0(VALU_DEP_4)
	v_fma_f64 v[22:23], v[22:23], 2.0, -v[24:25]
	ds_store_2addr_b64 v63, v[28:29], v[26:27] offset0:26 offset1:39
	ds_store_2addr_b64 v63, v[6:7], v[18:19] offset1:13
	ds_store_2addr_b64 v62, v[24:25], v[4:5] offset0:26 offset1:39
	ds_store_2addr_b64 v62, v[22:23], v[20:21] offset1:13
	global_wb scope:SCOPE_SE
	s_wait_dscnt 0x0
	s_barrier_signal -1
	s_barrier_wait -1
	global_inv scope:SCOPE_SE
	ds_load_2addr_b64 v[18:21], v152 offset1:208
	ds_load_2addr_b64 v[26:29], v60 offset0:32 offset1:240
	ds_load_2addr_b64 v[22:25], v61 offset1:208
	ds_load_b64 v[46:47], v152 offset:9984
	s_and_saveexec_b32 s1, s0
	s_cbranch_execz .LBB0_17
; %bb.16:
	v_add_nc_u32_e32 v0, 0x1f00, v152
	v_add_nc_u32_e32 v4, 0x1200, v152
	;; [unrolled: 1-line block ×3, first 2 shown]
	ds_load_2addr_b64 v[0:3], v0 offset0:22 offset1:230
	ds_load_2addr_b64 v[80:83], v4 offset0:22 offset1:230
	;; [unrolled: 1-line block ×3, first 2 shown]
	ds_load_b64 v[38:39], v152 offset:11440
	s_wait_dscnt 0x2
	v_dual_mov_b32 v78, v82 :: v_dual_mov_b32 v79, v83
	s_wait_dscnt 0x1
	v_dual_mov_b32 v83, v7 :: v_dual_mov_b32 v82, v6
.LBB0_17:
	s_wait_alu 0xfffe
	s_or_b32 exec_lo, exec_lo, s1
	v_mul_f64_e32 v[6:7], v[56:57], v[12:13]
	v_mul_f64_e32 v[12:13], v[58:59], v[16:17]
	v_fma_f64 v[16:17], v[50:51], 2.0, -v[66:67]
	global_wb scope:SCOPE_SE
	s_wait_dscnt 0x0
	s_barrier_signal -1
	s_barrier_wait -1
	global_inv scope:SCOPE_SE
	v_fma_f64 v[6:7], v[30:31], v[10:11], -v[6:7]
	v_fma_f64 v[10:11], v[32:33], v[14:15], -v[12:13]
	v_fma_f64 v[14:15], v[42:43], 2.0, -v[68:69]
                                        ; implicit-def: $vgpr42_vgpr43
	s_delay_alu instid0(VALU_DEP_3) | instskip(NEXT) | instid1(VALU_DEP_3)
	v_add_f64_e64 v[6:7], v[34:35], -v[6:7]
	v_add_f64_e64 v[12:13], v[36:37], -v[10:11]
	s_delay_alu instid0(VALU_DEP_2) | instskip(NEXT) | instid1(VALU_DEP_2)
	v_fma_f64 v[30:31], v[34:35], 2.0, -v[6:7]
	v_fma_f64 v[32:33], v[36:37], 2.0, -v[12:13]
	v_add_f64_e64 v[34:35], v[6:7], -v[54:55]
	v_add_f64_e64 v[10:11], v[12:13], -v[64:65]
	s_delay_alu instid0(VALU_DEP_4) | instskip(NEXT) | instid1(VALU_DEP_4)
	v_add_f64_e64 v[14:15], v[30:31], -v[14:15]
	v_add_f64_e64 v[16:17], v[32:33], -v[16:17]
	s_delay_alu instid0(VALU_DEP_4) | instskip(NEXT) | instid1(VALU_DEP_4)
	v_fma_f64 v[6:7], v[6:7], 2.0, -v[34:35]
	v_fma_f64 v[12:13], v[12:13], 2.0, -v[10:11]
	s_delay_alu instid0(VALU_DEP_4) | instskip(NEXT) | instid1(VALU_DEP_4)
	v_fma_f64 v[30:31], v[30:31], 2.0, -v[14:15]
	v_fma_f64 v[32:33], v[32:33], 2.0, -v[16:17]
	ds_store_2addr_b64 v63, v[14:15], v[34:35] offset0:26 offset1:39
	ds_store_2addr_b64 v63, v[30:31], v[6:7] offset1:13
	ds_store_2addr_b64 v62, v[32:33], v[12:13] offset1:13
	ds_store_2addr_b64 v62, v[16:17], v[10:11] offset0:26 offset1:39
	global_wb scope:SCOPE_SE
	s_wait_dscnt 0x0
	s_barrier_signal -1
	s_barrier_wait -1
	global_inv scope:SCOPE_SE
	ds_load_2addr_b64 v[14:17], v152 offset1:208
	ds_load_2addr_b64 v[34:37], v60 offset0:32 offset1:240
	ds_load_2addr_b64 v[30:33], v61 offset1:208
	ds_load_b64 v[50:51], v152 offset:9984
	s_and_saveexec_b32 s1, s0
	s_cbranch_execz .LBB0_19
; %bb.18:
	v_add_nc_u32_e32 v6, 0x1f00, v152
	v_add_nc_u32_e32 v10, 0x1200, v152
	;; [unrolled: 1-line block ×3, first 2 shown]
	ds_load_2addr_b64 v[6:9], v6 offset0:22 offset1:230
	ds_load_2addr_b64 v[52:55], v10 offset0:22 offset1:230
	ds_load_2addr_b64 v[10:13], v11 offset0:22 offset1:230
	ds_load_b64 v[42:43], v152 offset:11440
	s_wait_dscnt 0x3
	v_dual_mov_b32 v41, v7 :: v_dual_mov_b32 v40, v6
	s_wait_dscnt 0x2
	v_mov_b32_e32 v48, v52
	v_dual_mov_b32 v44, v54 :: v_dual_mov_b32 v49, v53
	s_wait_dscnt 0x1
	v_mov_b32_e32 v53, v13
	v_dual_mov_b32 v45, v55 :: v_dual_mov_b32 v52, v12
.LBB0_19:
	s_wait_alu 0xfffe
	s_or_b32 exec_lo, exec_lo, s1
	v_lshrrev_b16 v75, 12, v86
	s_mov_b32 s4, 0x37e14327
	s_mov_b32 s12, 0xe976ee23
	;; [unrolled: 1-line block ×4, first 2 shown]
	v_mul_lo_u16 v6, v75, 52
	s_mov_b32 s10, 0x429ad128
	s_mov_b32 s14, 0x36b3c0b5
	;; [unrolled: 1-line block ×4, first 2 shown]
	v_sub_nc_u16 v6, v74, v6
	s_mov_b32 s18, 0xaaaaaaaa
	s_mov_b32 s24, 0xb247c609
	;; [unrolled: 1-line block ×4, first 2 shown]
	v_and_b32_e32 v124, 0xff, v6
	s_mov_b32 s25, 0xbfd5d0dc
	s_mov_b32 s21, 0x3fe77f67
	;; [unrolled: 1-line block ×4, first 2 shown]
	v_mul_u32_u24_e32 v6, 6, v124
	s_wait_alu 0xfffe
	s_mov_b32 s22, s20
	s_mov_b32 s26, s24
	;; [unrolled: 1-line block ×4, first 2 shown]
	v_lshlrev_b32_e32 v6, 4, v6
	s_clause 0x5
	global_load_b128 v[54:57], v6, s[8:9] offset:624
	global_load_b128 v[58:61], v6, s[8:9] offset:640
	;; [unrolled: 1-line block ×6, first 2 shown]
	v_lshrrev_b32_e32 v6, 20, v85
	s_delay_alu instid0(VALU_DEP_1) | instskip(NEXT) | instid1(VALU_DEP_1)
	v_mul_lo_u16 v6, v6, 52
	v_sub_nc_u16 v6, v84, v6
	s_delay_alu instid0(VALU_DEP_1) | instskip(NEXT) | instid1(VALU_DEP_1)
	v_and_b32_e32 v125, 0xffff, v6
	v_mul_u32_u24_e32 v6, 6, v125
	s_delay_alu instid0(VALU_DEP_1)
	v_lshlrev_b32_e32 v6, 4, v6
	s_clause 0x5
	global_load_b128 v[94:97], v6, s[8:9] offset:624
	global_load_b128 v[98:101], v6, s[8:9] offset:640
	;; [unrolled: 1-line block ×6, first 2 shown]
	global_wb scope:SCOPE_SE
	s_wait_loadcnt_dscnt 0x0
	s_barrier_signal -1
	s_barrier_wait -1
	global_inv scope:SCOPE_SE
	v_mul_f64_e32 v[6:7], v[16:17], v[56:57]
	v_mul_f64_e32 v[12:13], v[34:35], v[60:61]
	;; [unrolled: 1-line block ×12, first 2 shown]
	v_fma_f64 v[6:7], v[20:21], v[54:55], v[6:7]
	v_fma_f64 v[20:21], v[26:27], v[58:59], v[12:13]
	;; [unrolled: 1-line block ×4, first 2 shown]
	v_fma_f64 v[16:17], v[16:17], v[54:55], -v[56:57]
	v_fma_f64 v[34:35], v[34:35], v[58:59], -v[60:61]
	v_fma_f64 v[24:25], v[28:29], v[86:87], v[120:121]
	v_fma_f64 v[28:29], v[36:37], v[86:87], -v[88:89]
	v_fma_f64 v[22:23], v[22:23], v[90:91], v[122:123]
	v_fma_f64 v[32:33], v[32:33], v[66:67], -v[68:69]
	v_fma_f64 v[30:31], v[30:31], v[90:91], -v[92:93]
	;; [unrolled: 1-line block ×3, first 2 shown]
	v_mul_f64_e32 v[85:86], v[80:81], v[100:101]
	v_mul_f64_e32 v[87:88], v[44:45], v[104:105]
	;; [unrolled: 1-line block ×5, first 2 shown]
	v_add_f64_e32 v[46:47], v[6:7], v[12:13]
	v_add_f64_e32 v[50:51], v[20:21], v[26:27]
	;; [unrolled: 1-line block ×3, first 2 shown]
	v_add_f64_e64 v[54:55], v[34:35], -v[32:33]
	v_add_f64_e64 v[58:59], v[30:31], -v[28:29]
	;; [unrolled: 1-line block ×3, first 2 shown]
	v_add_f64_e32 v[62:63], v[50:51], v[46:47]
	v_add_f64_e64 v[64:65], v[46:47], -v[56:57]
	v_add_f64_e64 v[46:47], v[50:51], -v[46:47]
	v_add_f64_e64 v[66:67], v[58:59], -v[54:55]
	v_add_f64_e64 v[68:69], v[54:55], -v[60:61]
	v_add_f64_e32 v[54:55], v[58:59], v[54:55]
	v_add_f64_e64 v[58:59], v[60:61], -v[58:59]
	v_add_f64_e32 v[62:63], v[56:57], v[62:63]
	v_add_f64_e64 v[56:57], v[56:57], -v[50:51]
	v_mul_f64_e32 v[64:65], s[4:5], v[64:65]
	v_mul_f64_e32 v[66:67], s[12:13], v[66:67]
	;; [unrolled: 1-line block ×3, first 2 shown]
	v_add_f64_e32 v[54:55], v[54:55], v[60:61]
	v_add_f64_e32 v[18:19], v[18:19], v[62:63]
	v_mul_f64_e32 v[50:51], s[14:15], v[56:57]
	v_fma_f64 v[56:57], v[56:57], s[14:15], v[64:65]
	s_wait_alu 0xfffe
	v_fma_f64 v[64:65], v[46:47], s[22:23], -v[64:65]
	v_fma_f64 v[60:61], v[58:59], s[24:25], v[66:67]
	v_fma_f64 v[66:67], v[68:69], s[10:11], -v[66:67]
	v_fma_f64 v[58:59], v[58:59], s[26:27], -v[70:71]
	v_mul_f64_e32 v[68:69], v[82:83], v[96:97]
	v_mul_f64_e32 v[70:71], v[48:49], v[100:101]
	;; [unrolled: 1-line block ×3, first 2 shown]
	v_fma_f64 v[62:63], v[62:63], s[18:19], v[18:19]
	v_fma_f64 v[46:47], v[46:47], s[20:21], -v[50:51]
	v_mul_f64_e32 v[50:51], v[52:53], v[96:97]
	v_mul_f64_e32 v[96:97], v[0:1], v[108:109]
	;; [unrolled: 1-line block ×4, first 2 shown]
	v_fma_f64 v[112:113], v[54:55], s[28:29], v[60:61]
	v_fma_f64 v[66:67], v[54:55], s[28:29], v[66:67]
	;; [unrolled: 1-line block ×3, first 2 shown]
	v_fma_f64 v[52:53], v[52:53], v[94:95], -v[68:69]
	v_fma_f64 v[54:55], v[48:49], v[98:99], -v[85:86]
	v_fma_f64 v[48:49], v[78:79], v[102:103], v[87:88]
	v_fma_f64 v[58:59], v[2:3], v[110:111], v[100:101]
	v_fma_f64 v[60:61], v[8:9], v[110:111], -v[104:105]
	v_add_f64_e32 v[120:121], v[56:57], v[62:63]
	v_add_f64_e32 v[64:65], v[64:65], v[62:63]
	;; [unrolled: 1-line block ×3, first 2 shown]
	v_fma_f64 v[46:47], v[82:83], v[94:95], v[50:51]
	v_fma_f64 v[50:51], v[80:81], v[98:99], v[70:71]
	v_fma_f64 v[56:57], v[44:45], v[102:103], -v[89:90]
	v_fma_f64 v[44:45], v[0:1], v[106:107], v[91:92]
	v_fma_f64 v[40:41], v[40:41], v[106:107], -v[96:97]
	;; [unrolled: 2-line block ×3, first 2 shown]
	v_and_b32_e32 v42, 0xffff, v75
	v_lshlrev_b32_e32 v43, 3, v124
	s_delay_alu instid0(VALU_DEP_2) | instskip(NEXT) | instid1(VALU_DEP_1)
	v_mul_u32_u24_e32 v42, 0xb60, v42
	v_add3_u32 v43, 0, v42, v43
	v_lshl_add_u32 v42, v125, 3, 0
	v_add_f64_e32 v[0:1], v[112:113], v[120:121]
	v_add_f64_e32 v[2:3], v[118:119], v[64:65]
	v_add_f64_e64 v[68:69], v[62:63], -v[66:67]
	v_add_f64_e32 v[66:67], v[66:67], v[62:63]
	v_add_f64_e64 v[63:64], v[64:65], -v[118:119]
	v_add_f64_e64 v[70:71], v[120:121], -v[112:113]
	v_add_nc_u32_e32 v62, 0x400, v43
	ds_store_2addr_b64 v43, v[18:19], v[0:1] offset1:52
	ds_store_2addr_b64 v43, v[2:3], v[68:69] offset0:104 offset1:156
	ds_store_2addr_b64 v62, v[66:67], v[63:64] offset0:80 offset1:132
	ds_store_b64 v43, v[70:71] offset:2496
	s_and_saveexec_b32 s1, s0
	s_cbranch_execz .LBB0_21
; %bb.20:
	v_add_f64_e32 v[0:1], v[50:51], v[58:59]
	v_add_f64_e32 v[2:3], v[46:47], v[8:9]
	v_add_f64_e64 v[18:19], v[40:41], -v[56:57]
	v_add_f64_e64 v[63:64], v[54:55], -v[60:61]
	v_add_f64_e32 v[65:66], v[48:49], v[44:45]
	v_add_f64_e64 v[67:68], v[52:53], -v[38:39]
	v_add_f64_e32 v[69:70], v[0:1], v[2:3]
	s_delay_alu instid0(VALU_DEP_4) | instskip(NEXT) | instid1(VALU_DEP_4)
	v_add_f64_e64 v[78:79], v[18:19], -v[63:64]
	v_add_f64_e64 v[80:81], v[2:3], -v[65:66]
	s_delay_alu instid0(VALU_DEP_4)
	v_add_f64_e64 v[82:83], v[63:64], -v[67:68]
	v_add_f64_e32 v[63:64], v[18:19], v[63:64]
	v_add_f64_e64 v[18:19], v[67:68], -v[18:19]
	v_add_f64_e32 v[69:70], v[65:66], v[69:70]
	v_add_f64_e64 v[65:66], v[65:66], -v[0:1]
	v_add_f64_e64 v[0:1], v[0:1], -v[2:3]
	v_mul_f64_e32 v[2:3], s[12:13], v[78:79]
	v_mul_f64_e32 v[78:79], s[4:5], v[80:81]
	;; [unrolled: 1-line block ×3, first 2 shown]
	v_add_f64_e32 v[63:64], v[63:64], v[67:68]
	v_add_f64_e32 v[4:5], v[4:5], v[69:70]
	v_mul_f64_e32 v[85:86], s[14:15], v[65:66]
	v_fma_f64 v[67:68], v[18:19], s[24:25], v[2:3]
	v_fma_f64 v[65:66], v[65:66], s[14:15], v[78:79]
	v_fma_f64 v[87:88], v[0:1], s[22:23], -v[78:79]
	v_fma_f64 v[18:19], v[18:19], s[26:27], -v[80:81]
	;; [unrolled: 1-line block ×3, first 2 shown]
	v_fma_f64 v[69:70], v[69:70], s[18:19], v[4:5]
	v_fma_f64 v[0:1], v[0:1], s[20:21], -v[85:86]
	v_fma_f64 v[67:68], v[63:64], s[28:29], v[67:68]
	v_fma_f64 v[18:19], v[63:64], s[28:29], v[18:19]
	;; [unrolled: 1-line block ×3, first 2 shown]
	v_add_f64_e32 v[65:66], v[65:66], v[69:70]
	v_add_f64_e32 v[63:64], v[87:88], v[69:70]
	;; [unrolled: 1-line block ×3, first 2 shown]
	s_delay_alu instid0(VALU_DEP_3) | instskip(NEXT) | instid1(VALU_DEP_3)
	v_add_f64_e32 v[80:81], v[67:68], v[65:66]
	v_add_f64_e64 v[69:70], v[63:64], -v[18:19]
	s_delay_alu instid0(VALU_DEP_3)
	v_add_f64_e64 v[78:79], v[0:1], -v[2:3]
	v_add_f64_e32 v[18:19], v[18:19], v[63:64]
	v_add_f64_e32 v[0:1], v[2:3], v[0:1]
	v_add_f64_e64 v[2:3], v[65:66], -v[67:68]
	v_add_nc_u32_e32 v63, 0x2000, v42
	v_add_nc_u32_e32 v64, 0x2800, v42
	ds_store_2addr_b64 v63, v[4:5], v[80:81] offset0:68 offset1:120
	ds_store_2addr_b64 v63, v[18:19], v[78:79] offset0:172 offset1:224
	;; [unrolled: 1-line block ×3, first 2 shown]
	ds_store_b64 v42, v[2:3] offset:11232
.LBB0_21:
	s_wait_alu 0xfffe
	s_or_b32 exec_lo, exec_lo, s1
	v_add_f64_e32 v[0:1], v[16:17], v[36:37]
	v_add_f64_e32 v[2:3], v[34:35], v[32:33]
	v_add_f64_e64 v[4:5], v[20:21], -v[26:27]
	v_add_f64_e32 v[16:17], v[28:29], v[30:31]
	v_add_f64_e64 v[18:19], v[22:23], -v[24:25]
	v_add_f64_e64 v[6:7], v[6:7], -v[12:13]
	global_wb scope:SCOPE_SE
	s_wait_dscnt 0x0
	s_barrier_signal -1
	s_barrier_wait -1
	global_inv scope:SCOPE_SE
	v_add_f64_e32 v[12:13], v[2:3], v[0:1]
	v_add_f64_e64 v[20:21], v[0:1], -v[16:17]
	v_add_f64_e64 v[22:23], v[18:19], -v[4:5]
	;; [unrolled: 1-line block ×3, first 2 shown]
	v_add_f64_e32 v[4:5], v[18:19], v[4:5]
	v_add_f64_e64 v[18:19], v[6:7], -v[18:19]
	v_add_f64_e64 v[0:1], v[2:3], -v[0:1]
	v_add_f64_e32 v[12:13], v[16:17], v[12:13]
	v_add_f64_e64 v[16:17], v[16:17], -v[2:3]
	v_mul_f64_e32 v[20:21], s[4:5], v[20:21]
	v_mul_f64_e32 v[22:23], s[12:13], v[22:23]
	;; [unrolled: 1-line block ×3, first 2 shown]
	v_add_f64_e32 v[4:5], v[4:5], v[6:7]
	v_add_f64_e32 v[28:29], v[14:15], v[12:13]
	v_mul_f64_e32 v[2:3], s[14:15], v[16:17]
	v_fma_f64 v[6:7], v[16:17], s[14:15], v[20:21]
	v_fma_f64 v[14:15], v[18:19], s[24:25], v[22:23]
	v_fma_f64 v[16:17], v[24:25], s[10:11], -v[22:23]
	v_fma_f64 v[18:19], v[18:19], s[26:27], -v[26:27]
	;; [unrolled: 1-line block ×3, first 2 shown]
	v_add_nc_u32_e32 v22, 0x1600, v152
	v_add_nc_u32_e32 v23, 0xa00, v152
	;; [unrolled: 1-line block ×3, first 2 shown]
	v_fma_f64 v[12:13], v[12:13], s[18:19], v[28:29]
	v_fma_f64 v[0:1], v[0:1], s[20:21], -v[2:3]
	v_fma_f64 v[2:3], v[4:5], s[28:29], v[14:15]
	v_fma_f64 v[14:15], v[4:5], s[28:29], v[16:17]
	;; [unrolled: 1-line block ×3, first 2 shown]
	v_add_f64_e32 v[6:7], v[6:7], v[12:13]
	v_add_f64_e32 v[16:17], v[20:21], v[12:13]
	;; [unrolled: 1-line block ×3, first 2 shown]
	s_delay_alu instid0(VALU_DEP_3) | instskip(NEXT) | instid1(VALU_DEP_3)
	v_add_f64_e64 v[20:21], v[6:7], -v[2:3]
	v_add_f64_e64 v[25:26], v[16:17], -v[4:5]
	s_delay_alu instid0(VALU_DEP_3)
	v_add_f64_e32 v[30:31], v[14:15], v[0:1]
	v_add_f64_e64 v[32:33], v[0:1], -v[14:15]
	v_add_f64_e32 v[34:35], v[4:5], v[16:17]
	v_add_f64_e32 v[36:37], v[2:3], v[6:7]
	ds_load_2addr_b64 v[0:3], v152 offset1:182
	ds_load_2addr_b64 v[12:15], v22 offset0:24 offset1:206
	ds_load_2addr_b64 v[4:7], v23 offset0:44 offset1:226
	;; [unrolled: 1-line block ×3, first 2 shown]
	global_wb scope:SCOPE_SE
	s_wait_dscnt 0x0
	s_barrier_signal -1
	s_barrier_wait -1
	global_inv scope:SCOPE_SE
	ds_store_2addr_b64 v43, v[28:29], v[20:21] offset1:52
	ds_store_2addr_b64 v43, v[25:26], v[30:31] offset0:104 offset1:156
	ds_store_2addr_b64 v62, v[32:33], v[34:35] offset0:80 offset1:132
	ds_store_b64 v43, v[36:37] offset:2496
	s_and_saveexec_b32 s1, s0
	s_cbranch_execz .LBB0_23
; %bb.22:
	v_add_f64_e32 v[20:21], v[52:53], v[38:39]
	v_add_f64_e32 v[25:26], v[54:55], v[60:61]
	;; [unrolled: 1-line block ×3, first 2 shown]
	v_add_f64_e64 v[29:30], v[50:51], -v[58:59]
	v_add_f64_e64 v[31:32], v[44:45], -v[48:49]
	;; [unrolled: 1-line block ×3, first 2 shown]
	s_mov_b32 s10, 0x36b3c0b5
	s_mov_b32 s11, 0x3fac98ee
	;; [unrolled: 1-line block ×6, first 2 shown]
	v_add_f64_e32 v[33:34], v[25:26], v[20:21]
	v_add_f64_e64 v[35:36], v[20:21], -v[27:28]
	v_add_f64_e64 v[37:38], v[27:28], -v[25:26]
	;; [unrolled: 1-line block ×5, first 2 shown]
	v_add_f64_e32 v[25:26], v[31:32], v[29:30]
	v_add_f64_e64 v[29:30], v[8:9], -v[31:32]
	v_add_f64_e32 v[27:28], v[27:28], v[33:34]
	v_mul_f64_e32 v[31:32], s[4:5], v[35:36]
	s_mov_b32 s4, 0x429ad128
	s_wait_alu 0xfffe
	v_mul_f64_e32 v[33:34], s[10:11], v[37:38]
	v_mul_f64_e32 v[35:36], s[12:13], v[39:40]
	s_mov_b32 s5, 0xbfebfeb5
	s_mov_b32 s12, 0xaaaaaaaa
	s_wait_alu 0xfffe
	v_mul_f64_e32 v[39:40], s[4:5], v[43:44]
	s_mov_b32 s13, 0xbff2aaaa
	v_add_f64_e32 v[8:9], v[25:26], v[8:9]
	v_add_f64_e32 v[10:11], v[10:11], v[27:28]
	v_fma_f64 v[25:26], v[37:38], s[10:11], v[31:32]
	v_fma_f64 v[33:34], v[20:21], s[14:15], -v[33:34]
	s_mov_b32 s15, 0xbfe77f67
	v_fma_f64 v[37:38], v[29:30], s[18:19], v[35:36]
	s_mov_b32 s19, 0x3fd5d0dc
	v_fma_f64 v[35:36], v[43:44], s[4:5], -v[35:36]
	s_wait_alu 0xfffe
	v_fma_f64 v[29:30], v[29:30], s[18:19], -v[39:40]
	v_fma_f64 v[20:21], v[20:21], s[14:15], -v[31:32]
	s_mov_b32 s4, 0x37c3f68c
	s_mov_b32 s5, 0xbfdc38aa
	v_fma_f64 v[27:28], v[27:28], s[12:13], v[10:11]
	s_wait_alu 0xfffe
	v_fma_f64 v[31:32], v[8:9], s[4:5], v[37:38]
	v_fma_f64 v[35:36], v[8:9], s[4:5], v[35:36]
	;; [unrolled: 1-line block ×3, first 2 shown]
	s_delay_alu instid0(VALU_DEP_4) | instskip(SKIP_2) | instid1(VALU_DEP_3)
	v_add_f64_e32 v[25:26], v[25:26], v[27:28]
	v_add_f64_e32 v[20:21], v[20:21], v[27:28]
	;; [unrolled: 1-line block ×3, first 2 shown]
	v_add_f64_e64 v[29:30], v[25:26], -v[31:32]
	s_delay_alu instid0(VALU_DEP_3) | instskip(NEXT) | instid1(VALU_DEP_3)
	v_add_f64_e64 v[33:34], v[20:21], -v[8:9]
	v_add_f64_e32 v[37:38], v[35:36], v[27:28]
	v_add_f64_e64 v[27:28], v[27:28], -v[35:36]
	v_add_f64_e32 v[8:9], v[8:9], v[20:21]
	v_add_f64_e32 v[20:21], v[31:32], v[25:26]
	v_add_nc_u32_e32 v25, 0x2000, v42
	v_add_nc_u32_e32 v26, 0x2800, v42
	ds_store_2addr_b64 v25, v[10:11], v[29:30] offset0:68 offset1:120
	ds_store_2addr_b64 v25, v[33:34], v[37:38] offset0:172 offset1:224
	;; [unrolled: 1-line block ×3, first 2 shown]
	ds_store_b64 v42, v[20:21] offset:11232
.LBB0_23:
	s_wait_alu 0xfffe
	s_or_b32 exec_lo, exec_lo, s1
	v_mov_b32_e32 v75, 0
	global_wb scope:SCOPE_SE
	s_wait_dscnt 0x0
	s_barrier_signal -1
	s_barrier_wait -1
	global_inv scope:SCOPE_SE
	v_lshlrev_b64_e32 v[8:9], 4, v[74:75]
	s_delay_alu instid0(VALU_DEP_1) | instskip(SKIP_1) | instid1(VALU_DEP_2)
	v_add_co_u32 v20, s0, s8, v8
	s_wait_alu 0xf1ff
	v_add_co_ci_u32_e64 v21, s0, s9, v9, s0
	s_clause 0x1
	global_load_b128 v[8:11], v[20:21], off offset:5616
	global_load_b128 v[25:28], v[20:21], off offset:8528
	ds_load_2addr_b64 v[29:32], v22 offset0:24 offset1:206
	ds_load_2addr_b64 v[33:36], v24 offset0:68 offset1:250
	s_wait_loadcnt_dscnt 0x101
	v_mul_f64_e32 v[37:38], v[29:30], v[10:11]
	s_wait_loadcnt 0x0
	v_mul_f64_e32 v[39:40], v[31:32], v[27:28]
	s_wait_dscnt 0x0
	v_mul_f64_e32 v[41:42], v[33:34], v[10:11]
	v_mul_f64_e32 v[43:44], v[35:36], v[27:28]
	;; [unrolled: 1-line block ×6, first 2 shown]
	v_fma_f64 v[12:13], v[12:13], v[8:9], v[37:38]
	v_fma_f64 v[14:15], v[14:15], v[25:26], v[39:40]
	;; [unrolled: 1-line block ×4, first 2 shown]
	v_fma_f64 v[29:30], v[29:30], v[8:9], -v[45:46]
	v_fma_f64 v[31:32], v[31:32], v[25:26], -v[47:48]
	;; [unrolled: 1-line block ×4, first 2 shown]
	ds_load_2addr_b64 v[8:11], v152 offset1:182
	v_add_f64_e64 v[27:28], v[0:1], -v[12:13]
	v_add_f64_e64 v[35:36], v[2:3], -v[14:15]
	;; [unrolled: 1-line block ×4, first 2 shown]
	ds_load_2addr_b64 v[12:15], v23 offset0:44 offset1:226
	s_wait_dscnt 0x1
	v_add_f64_e64 v[29:30], v[8:9], -v[29:30]
	v_add_f64_e64 v[31:32], v[10:11], -v[31:32]
	global_wb scope:SCOPE_SE
	s_wait_dscnt 0x0
	s_barrier_signal -1
	s_barrier_wait -1
	global_inv scope:SCOPE_SE
	v_add_f64_e64 v[33:34], v[12:13], -v[33:34]
	v_add_f64_e64 v[25:26], v[14:15], -v[25:26]
	v_fma_f64 v[0:1], v[0:1], 2.0, -v[27:28]
	v_fma_f64 v[2:3], v[2:3], 2.0, -v[35:36]
	;; [unrolled: 1-line block ×4, first 2 shown]
	ds_store_2addr_b64 v23, v[27:28], v[35:36] offset0:44 offset1:226
	ds_store_2addr_b64 v24, v[16:17], v[18:19] offset0:68 offset1:250
	ds_store_2addr_b64 v152, v[0:1], v[2:3] offset1:182
	ds_store_2addr_b64 v22, v[4:5], v[6:7] offset0:24 offset1:206
	v_fma_f64 v[37:38], v[8:9], 2.0, -v[29:30]
	v_fma_f64 v[39:40], v[10:11], 2.0, -v[31:32]
	;; [unrolled: 1-line block ×4, first 2 shown]
	global_wb scope:SCOPE_SE
	s_wait_dscnt 0x0
	s_barrier_signal -1
	s_barrier_wait -1
	global_inv scope:SCOPE_SE
	ds_load_2addr_b64 v[4:7], v152 offset1:182
	ds_load_2addr_b64 v[12:15], v22 offset0:24 offset1:206
	ds_load_2addr_b64 v[0:3], v23 offset0:44 offset1:226
	;; [unrolled: 1-line block ×3, first 2 shown]
	global_wb scope:SCOPE_SE
	s_wait_dscnt 0x0
	s_barrier_signal -1
	s_barrier_wait -1
	global_inv scope:SCOPE_SE
	ds_store_2addr_b64 v152, v[37:38], v[39:40] offset1:182
	ds_store_2addr_b64 v23, v[29:30], v[31:32] offset0:44 offset1:226
	ds_store_2addr_b64 v22, v[41:42], v[43:44] offset0:24 offset1:206
	;; [unrolled: 1-line block ×3, first 2 shown]
	global_wb scope:SCOPE_SE
	s_wait_dscnt 0x0
	s_barrier_signal -1
	s_barrier_wait -1
	global_inv scope:SCOPE_SE
	s_and_saveexec_b32 s0, vcc_lo
	s_cbranch_execz .LBB0_25
; %bb.24:
	s_clause 0x3
	global_load_b128 v[16:19], v[20:21], off offset:11440
	global_load_b128 v[22:25], v[20:21], off offset:14352
	;; [unrolled: 1-line block ×4, first 2 shown]
	v_add_nc_u32_e32 v71, 0x38e, v74
	v_add_nc_u32_e32 v70, 0x2d8, v74
	v_mad_co_u64_u32 v[62:63], null, s16, v84, 0
	v_lshlrev_b64_e32 v[60:61], 4, v[72:73]
	s_delay_alu instid0(VALU_DEP_4)
	v_mad_co_u64_u32 v[66:67], null, s16, v71, 0
	v_add_nc_u32_e32 v20, 0x1600, v152
	v_mad_co_u64_u32 v[64:65], null, s16, v70, 0
	v_add_nc_u32_e32 v21, 0x2000, v152
	ds_load_2addr_b64 v[34:37], v20 offset0:24 offset1:206
	ds_load_2addr_b64 v[38:41], v21 offset0:68 offset1:250
	v_mul_lo_u32 v68, s3, v76
	v_mul_lo_u32 v69, s2, v77
	v_mad_co_u64_u32 v[56:57], null, s2, v76, 0
	v_mad_co_u64_u32 v[58:59], null, s16, v74, 0
	s_delay_alu instid0(VALU_DEP_2) | instskip(NEXT) | instid1(VALU_DEP_2)
	v_add3_u32 v57, v57, v69, v68
	v_mad_co_u64_u32 v[68:69], null, s17, v74, v[59:60]
	s_delay_alu instid0(VALU_DEP_1)
	v_dual_mov_b32 v59, v68 :: v_dual_add_nc_u32 v42, 0xa00, v152
	ds_load_2addr_b64 v[42:45], v42 offset0:44 offset1:226
	s_wait_loadcnt_dscnt 0x302
	v_mul_f64_e32 v[48:49], v[34:35], v[18:19]
	v_mul_f64_e32 v[46:47], v[12:13], v[18:19]
	s_wait_loadcnt 0x2
	v_mul_f64_e32 v[50:51], v[14:15], v[24:25]
	v_mul_f64_e32 v[24:25], v[36:37], v[24:25]
	s_wait_loadcnt 0x1
	v_mul_f64_e32 v[52:53], v[8:9], v[28:29]
	s_wait_dscnt 0x1
	v_mul_f64_e32 v[28:29], v[38:39], v[28:29]
	s_wait_loadcnt 0x0
	v_mul_f64_e32 v[54:55], v[10:11], v[32:33]
	v_mul_f64_e32 v[32:33], v[40:41], v[32:33]
	ds_load_2addr_b64 v[18:21], v152 offset1:182
	v_fma_f64 v[12:13], v[12:13], v[16:17], v[48:49]
	v_fma_f64 v[34:35], v[34:35], v[16:17], -v[46:47]
	v_fma_f64 v[16:17], v[36:37], v[22:23], -v[50:51]
	v_fma_f64 v[22:23], v[14:15], v[22:23], v[24:25]
	v_mad_co_u64_u32 v[14:15], null, s17, v84, v[63:64]
	v_fma_f64 v[24:25], v[38:39], v[26:27], -v[52:53]
	v_fma_f64 v[26:27], v[8:9], v[26:27], v[28:29]
	v_fma_f64 v[28:29], v[40:41], v[30:31], -v[54:55]
	v_fma_f64 v[30:31], v[10:11], v[30:31], v[32:33]
	v_dual_mov_b32 v10, v65 :: v_dual_mov_b32 v11, v67
	v_mov_b32_e32 v63, v14
	v_lshlrev_b64_e32 v[8:9], 4, v[56:57]
	v_lshlrev_b64_e32 v[36:37], 4, v[58:59]
	s_delay_alu instid0(VALU_DEP_4) | instskip(SKIP_1) | instid1(VALU_DEP_4)
	v_mad_co_u64_u32 v[32:33], null, s17, v70, v[10:11]
	v_add_nc_u32_e32 v72, 0x16c, v74
	v_add_co_u32 v8, vcc_lo, s6, v8
	s_wait_alu 0xfffd
	v_add_co_ci_u32_e32 v9, vcc_lo, s7, v9, vcc_lo
	s_delay_alu instid0(VALU_DEP_4) | instskip(SKIP_3) | instid1(VALU_DEP_4)
	v_mov_b32_e32 v65, v32
	v_lshrrev_b32_e32 v75, 3, v72
	v_add_co_u32 v70, vcc_lo, v8, v60
	v_lshlrev_b64_e32 v[32:33], 4, v[62:63]
	v_lshlrev_b64_e32 v[46:47], 4, v[64:65]
	s_delay_alu instid0(VALU_DEP_4) | instskip(SKIP_1) | instid1(VALU_DEP_2)
	v_mul_hi_u32 v75, 0x16816817, v75
	v_mad_co_u64_u32 v[10:11], null, s17, v71, v[11:12]
	v_lshrrev_b32_e32 v11, 3, v75
	s_wait_alu 0xfffd
	v_add_co_ci_u32_e32 v71, vcc_lo, v9, v61, vcc_lo
	v_add_f64_e64 v[8:9], v[4:5], -v[12:13]
	v_add_f64_e64 v[12:13], v[6:7], -v[22:23]
	v_mad_u32_u24 v68, 0x2d8, v11, v72
	v_mov_b32_e32 v67, v10
	s_wait_dscnt 0x0
	v_add_f64_e64 v[10:11], v[18:19], -v[34:35]
	v_add_f64_e64 v[24:25], v[42:43], -v[24:25]
	;; [unrolled: 1-line block ×3, first 2 shown]
	v_add_nc_u32_e32 v60, 0x2d8, v68
	v_add_f64_e64 v[28:29], v[44:45], -v[28:29]
	v_add_f64_e64 v[26:27], v[2:3], -v[30:31]
	v_mad_co_u64_u32 v[38:39], null, s16, v68, 0
	s_delay_alu instid0(VALU_DEP_4) | instskip(SKIP_4) | instid1(VALU_DEP_3)
	v_mad_co_u64_u32 v[52:53], null, s16, v60, 0
	v_add_nc_u32_e32 v73, 0x222, v74
	v_add_co_u32 v50, vcc_lo, v70, v36
	s_wait_alu 0xfffd
	v_add_co_ci_u32_e32 v51, vcc_lo, v71, v37, vcc_lo
	v_lshrrev_b32_e32 v76, 3, v73
	v_add_co_u32 v56, vcc_lo, v70, v32
	s_wait_alu 0xfffd
	v_add_co_ci_u32_e32 v57, vcc_lo, v71, v33, vcc_lo
	s_delay_alu instid0(VALU_DEP_3) | instskip(SKIP_1) | instid1(VALU_DEP_2)
	v_mul_hi_u32 v76, 0x16816817, v76
	v_lshlrev_b64_e32 v[48:49], 4, v[66:67]
	v_lshrrev_b32_e32 v15, 3, v76
	s_delay_alu instid0(VALU_DEP_1) | instskip(SKIP_2) | instid1(VALU_DEP_3)
	v_mad_u32_u24 v69, 0x2d8, v15, v73
	v_add_f64_e64 v[14:15], v[20:21], -v[16:17]
	v_mov_b32_e32 v16, v39
	v_mad_co_u64_u32 v[40:41], null, s16, v69, 0
	v_add_nc_u32_e32 v34, 0x2d8, v69
	v_fma_f64 v[36:37], v[44:45], 2.0, -v[28:29]
	s_delay_alu instid0(VALU_DEP_3) | instskip(NEXT) | instid1(VALU_DEP_3)
	v_mov_b32_e32 v17, v41
	v_mad_co_u64_u32 v[54:55], null, s16, v34, 0
	s_delay_alu instid0(VALU_DEP_2) | instskip(SKIP_2) | instid1(VALU_DEP_4)
	v_mad_co_u64_u32 v[30:31], null, s17, v68, v[16:17]
	v_mov_b32_e32 v16, v53
	v_mad_co_u64_u32 v[58:59], null, s17, v69, v[17:18]
	v_mov_b32_e32 v31, v55
	v_fma_f64 v[18:19], v[18:19], 2.0, -v[10:11]
	s_delay_alu instid0(VALU_DEP_4) | instskip(SKIP_1) | instid1(VALU_DEP_4)
	v_mad_co_u64_u32 v[59:60], null, s17, v60, v[16:17]
	v_fma_f64 v[16:17], v[4:5], 2.0, -v[8:9]
	v_mad_co_u64_u32 v[60:61], null, s17, v34, v[31:32]
	v_mov_b32_e32 v39, v30
	v_fma_f64 v[30:31], v[6:7], 2.0, -v[12:13]
	v_fma_f64 v[6:7], v[42:43], 2.0, -v[24:25]
	;; [unrolled: 1-line block ×4, first 2 shown]
	v_mov_b32_e32 v41, v58
	v_add_co_u32 v0, vcc_lo, v70, v46
	v_lshlrev_b64_e32 v[2:3], 4, v[38:39]
	v_fma_f64 v[32:33], v[20:21], 2.0, -v[14:15]
	v_mov_b32_e32 v53, v59
	s_wait_alu 0xfffd
	v_add_co_ci_u32_e32 v1, vcc_lo, v71, v47, vcc_lo
	v_add_co_u32 v20, vcc_lo, v70, v48
	v_lshlrev_b64_e32 v[38:39], 4, v[40:41]
	v_mov_b32_e32 v55, v60
	s_wait_alu 0xfffd
	v_add_co_ci_u32_e32 v21, vcc_lo, v71, v49, vcc_lo
	v_lshlrev_b64_e32 v[40:41], 4, v[52:53]
	v_add_co_u32 v2, vcc_lo, v70, v2
	s_wait_alu 0xfffd
	v_add_co_ci_u32_e32 v3, vcc_lo, v71, v3, vcc_lo
	v_lshlrev_b64_e32 v[42:43], 4, v[54:55]
	v_add_co_u32 v38, vcc_lo, v70, v38
	s_wait_alu 0xfffd
	v_add_co_ci_u32_e32 v39, vcc_lo, v71, v39, vcc_lo
	v_add_co_u32 v40, vcc_lo, v70, v40
	s_wait_alu 0xfffd
	v_add_co_ci_u32_e32 v41, vcc_lo, v71, v41, vcc_lo
	;; [unrolled: 3-line block ×3, first 2 shown]
	s_clause 0x7
	global_store_b128 v[50:51], v[16:19], off
	global_store_b128 v[0:1], v[8:11], off
	;; [unrolled: 1-line block ×8, first 2 shown]
.LBB0_25:
	s_nop 0
	s_sendmsg sendmsg(MSG_DEALLOC_VGPRS)
	s_endpgm
	.section	.rodata,"a",@progbits
	.p2align	6, 0x0
	.amdhsa_kernel fft_rtc_back_len1456_factors_13_4_7_2_2_wgs_182_tpt_182_halfLds_dp_op_CI_CI_sbrr_dirReg
		.amdhsa_group_segment_fixed_size 0
		.amdhsa_private_segment_fixed_size 0
		.amdhsa_kernarg_size 104
		.amdhsa_user_sgpr_count 2
		.amdhsa_user_sgpr_dispatch_ptr 0
		.amdhsa_user_sgpr_queue_ptr 0
		.amdhsa_user_sgpr_kernarg_segment_ptr 1
		.amdhsa_user_sgpr_dispatch_id 0
		.amdhsa_user_sgpr_private_segment_size 0
		.amdhsa_wavefront_size32 1
		.amdhsa_uses_dynamic_stack 0
		.amdhsa_enable_private_segment 0
		.amdhsa_system_sgpr_workgroup_id_x 1
		.amdhsa_system_sgpr_workgroup_id_y 0
		.amdhsa_system_sgpr_workgroup_id_z 0
		.amdhsa_system_sgpr_workgroup_info 0
		.amdhsa_system_vgpr_workitem_id 0
		.amdhsa_next_free_vgpr 176
		.amdhsa_next_free_sgpr 50
		.amdhsa_reserve_vcc 1
		.amdhsa_float_round_mode_32 0
		.amdhsa_float_round_mode_16_64 0
		.amdhsa_float_denorm_mode_32 3
		.amdhsa_float_denorm_mode_16_64 3
		.amdhsa_fp16_overflow 0
		.amdhsa_workgroup_processor_mode 1
		.amdhsa_memory_ordered 1
		.amdhsa_forward_progress 0
		.amdhsa_round_robin_scheduling 0
		.amdhsa_exception_fp_ieee_invalid_op 0
		.amdhsa_exception_fp_denorm_src 0
		.amdhsa_exception_fp_ieee_div_zero 0
		.amdhsa_exception_fp_ieee_overflow 0
		.amdhsa_exception_fp_ieee_underflow 0
		.amdhsa_exception_fp_ieee_inexact 0
		.amdhsa_exception_int_div_zero 0
	.end_amdhsa_kernel
	.text
.Lfunc_end0:
	.size	fft_rtc_back_len1456_factors_13_4_7_2_2_wgs_182_tpt_182_halfLds_dp_op_CI_CI_sbrr_dirReg, .Lfunc_end0-fft_rtc_back_len1456_factors_13_4_7_2_2_wgs_182_tpt_182_halfLds_dp_op_CI_CI_sbrr_dirReg
                                        ; -- End function
	.section	.AMDGPU.csdata,"",@progbits
; Kernel info:
; codeLenInByte = 10820
; NumSgprs: 52
; NumVgprs: 176
; ScratchSize: 0
; MemoryBound: 1
; FloatMode: 240
; IeeeMode: 1
; LDSByteSize: 0 bytes/workgroup (compile time only)
; SGPRBlocks: 6
; VGPRBlocks: 21
; NumSGPRsForWavesPerEU: 52
; NumVGPRsForWavesPerEU: 176
; Occupancy: 8
; WaveLimiterHint : 1
; COMPUTE_PGM_RSRC2:SCRATCH_EN: 0
; COMPUTE_PGM_RSRC2:USER_SGPR: 2
; COMPUTE_PGM_RSRC2:TRAP_HANDLER: 0
; COMPUTE_PGM_RSRC2:TGID_X_EN: 1
; COMPUTE_PGM_RSRC2:TGID_Y_EN: 0
; COMPUTE_PGM_RSRC2:TGID_Z_EN: 0
; COMPUTE_PGM_RSRC2:TIDIG_COMP_CNT: 0
	.text
	.p2alignl 7, 3214868480
	.fill 96, 4, 3214868480
	.type	__hip_cuid_68d98572d5e44744,@object ; @__hip_cuid_68d98572d5e44744
	.section	.bss,"aw",@nobits
	.globl	__hip_cuid_68d98572d5e44744
__hip_cuid_68d98572d5e44744:
	.byte	0                               ; 0x0
	.size	__hip_cuid_68d98572d5e44744, 1

	.ident	"AMD clang version 19.0.0git (https://github.com/RadeonOpenCompute/llvm-project roc-6.4.0 25133 c7fe45cf4b819c5991fe208aaa96edf142730f1d)"
	.section	".note.GNU-stack","",@progbits
	.addrsig
	.addrsig_sym __hip_cuid_68d98572d5e44744
	.amdgpu_metadata
---
amdhsa.kernels:
  - .args:
      - .actual_access:  read_only
        .address_space:  global
        .offset:         0
        .size:           8
        .value_kind:     global_buffer
      - .offset:         8
        .size:           8
        .value_kind:     by_value
      - .actual_access:  read_only
        .address_space:  global
        .offset:         16
        .size:           8
        .value_kind:     global_buffer
      - .actual_access:  read_only
        .address_space:  global
        .offset:         24
        .size:           8
        .value_kind:     global_buffer
      - .actual_access:  read_only
        .address_space:  global
        .offset:         32
        .size:           8
        .value_kind:     global_buffer
      - .offset:         40
        .size:           8
        .value_kind:     by_value
      - .actual_access:  read_only
        .address_space:  global
        .offset:         48
        .size:           8
        .value_kind:     global_buffer
      - .actual_access:  read_only
        .address_space:  global
        .offset:         56
        .size:           8
        .value_kind:     global_buffer
      - .offset:         64
        .size:           4
        .value_kind:     by_value
      - .actual_access:  read_only
        .address_space:  global
        .offset:         72
        .size:           8
        .value_kind:     global_buffer
      - .actual_access:  read_only
        .address_space:  global
        .offset:         80
        .size:           8
        .value_kind:     global_buffer
      - .actual_access:  read_only
        .address_space:  global
        .offset:         88
        .size:           8
        .value_kind:     global_buffer
      - .actual_access:  write_only
        .address_space:  global
        .offset:         96
        .size:           8
        .value_kind:     global_buffer
    .group_segment_fixed_size: 0
    .kernarg_segment_align: 8
    .kernarg_segment_size: 104
    .language:       OpenCL C
    .language_version:
      - 2
      - 0
    .max_flat_workgroup_size: 182
    .name:           fft_rtc_back_len1456_factors_13_4_7_2_2_wgs_182_tpt_182_halfLds_dp_op_CI_CI_sbrr_dirReg
    .private_segment_fixed_size: 0
    .sgpr_count:     52
    .sgpr_spill_count: 0
    .symbol:         fft_rtc_back_len1456_factors_13_4_7_2_2_wgs_182_tpt_182_halfLds_dp_op_CI_CI_sbrr_dirReg.kd
    .uniform_work_group_size: 1
    .uses_dynamic_stack: false
    .vgpr_count:     176
    .vgpr_spill_count: 0
    .wavefront_size: 32
    .workgroup_processor_mode: 1
amdhsa.target:   amdgcn-amd-amdhsa--gfx1201
amdhsa.version:
  - 1
  - 2
...

	.end_amdgpu_metadata
